;; amdgpu-corpus repo=ROCm/rocFFT kind=compiled arch=gfx1100 opt=O3
	.text
	.amdgcn_target "amdgcn-amd-amdhsa--gfx1100"
	.amdhsa_code_object_version 6
	.protected	bluestein_single_back_len320_dim1_dp_op_CI_CI ; -- Begin function bluestein_single_back_len320_dim1_dp_op_CI_CI
	.globl	bluestein_single_back_len320_dim1_dp_op_CI_CI
	.p2align	8
	.type	bluestein_single_back_len320_dim1_dp_op_CI_CI,@function
bluestein_single_back_len320_dim1_dp_op_CI_CI: ; @bluestein_single_back_len320_dim1_dp_op_CI_CI
; %bb.0:
	s_load_b128 s[16:19], s[0:1], 0x28
	v_lshrrev_b32_e32 v81, 4, v0
	v_mov_b32_e32 v94, 0
	s_mov_b32 s2, exec_lo
	s_delay_alu instid0(VALU_DEP_2) | instskip(SKIP_1) | instid1(VALU_DEP_1)
	v_lshl_or_b32 v93, s15, 2, v81
	s_waitcnt lgkmcnt(0)
	v_cmpx_gt_u64_e64 s[16:17], v[93:94]
	s_cbranch_execz .LBB0_2
; %bb.1:
	s_clause 0x1
	s_load_b128 s[4:7], s[0:1], 0x18
	s_load_b128 s[8:11], s[0:1], 0x0
	v_and_b32_e32 v173, 15, v0
	v_mul_u32_u24_e32 v254, 0x140, v81
	s_mov_b32 s16, 0x134454ff
	s_mov_b32 s17, 0x3fee6f0e
	;; [unrolled: 1-line block ×7, first 2 shown]
	v_or_b32_e32 v0, 48, v0
	s_load_b64 s[0:1], s[0:1], 0x38
	s_waitcnt lgkmcnt(0)
	s_load_b128 s[12:15], s[4:5], 0x0
	s_add_u32 s2, s8, 0x1400
	s_addc_u32 s3, s9, 0
	s_waitcnt lgkmcnt(0)
	v_mad_u64_u32 v[1:2], null, s14, v93, 0
	v_mad_u64_u32 v[3:4], null, s12, v173, 0
	s_lshl_b64 s[4:5], s[12:13], 9
	s_delay_alu instid0(VALU_DEP_1) | instskip(NEXT) | instid1(VALU_DEP_2)
	v_mov_b32_e32 v8, v4
	v_mad_u64_u32 v[6:7], null, s15, v93, v[2:3]
	s_mov_b32 s14, 0x372fe950
	s_mov_b32 s15, 0x3fd3c6ef
	s_delay_alu instid0(VALU_DEP_2) | instskip(SKIP_2) | instid1(VALU_DEP_3)
	v_mad_u64_u32 v[4:5], null, s13, v173, v[8:9]
	v_lshlrev_b32_e32 v247, 4, v173
	s_mulk_i32 s13, 0xef00
	v_mov_b32_e32 v2, v6
	s_mov_b32 s22, s14
	s_delay_alu instid0(VALU_DEP_2) | instskip(NEXT) | instid1(VALU_DEP_4)
	v_lshl_or_b32 v245, v254, 4, v247
	v_lshlrev_b64 v[3:4], 4, v[3:4]
	s_delay_alu instid0(VALU_DEP_3) | instskip(NEXT) | instid1(VALU_DEP_1)
	v_lshlrev_b64 v[1:2], 4, v[1:2]
	v_add_co_u32 v1, vcc_lo, s18, v1
	s_delay_alu instid0(VALU_DEP_2) | instskip(SKIP_1) | instid1(VALU_DEP_2)
	v_add_co_ci_u32_e32 v2, vcc_lo, s19, v2, vcc_lo
	s_mov_b32 s19, 0xbfee6f0e
	v_add_co_u32 v1, vcc_lo, v1, v3
	s_delay_alu instid0(VALU_DEP_2)
	v_add_co_ci_u32_e32 v2, vcc_lo, v2, v4, vcc_lo
	global_load_b128 v[5:8], v247, s[8:9]
	global_load_b128 v[21:24], v[1:2], off
	v_add_co_u32 v1, vcc_lo, v1, s4
	v_add_co_ci_u32_e32 v2, vcc_lo, s5, v2, vcc_lo
	s_mov_b32 s18, s16
	s_delay_alu instid0(VALU_DEP_2) | instskip(NEXT) | instid1(VALU_DEP_2)
	v_add_co_u32 v3, vcc_lo, v1, s4
	v_add_co_ci_u32_e32 v4, vcc_lo, s5, v2, vcc_lo
	global_load_b128 v[45:48], v247, s[8:9] offset:512
	global_load_b128 v[25:28], v[1:2], off
	global_load_b128 v[41:44], v247, s[8:9] offset:1024
	global_load_b128 v[29:32], v[3:4], off
	v_add_co_u32 v1, vcc_lo, v3, s4
	v_add_co_ci_u32_e32 v2, vcc_lo, s5, v4, vcc_lo
	global_load_b128 v[17:20], v247, s[8:9] offset:1536
	v_add_co_u32 v3, vcc_lo, v1, s4
	v_add_co_ci_u32_e32 v4, vcc_lo, s5, v2, vcc_lo
	global_load_b128 v[33:36], v[1:2], off
	global_load_b128 v[13:16], v247, s[8:9] offset:2048
	global_load_b128 v[37:40], v[3:4], off
	v_add_co_u32 v3, vcc_lo, v3, s4
	v_add_co_ci_u32_e32 v4, vcc_lo, s5, v4, vcc_lo
	s_waitcnt vmcnt(9)
	v_mov_b32_e32 v10, v8
	v_dual_mov_b32 v9, v7 :: v_dual_mov_b32 v8, v6
	v_mov_b32_e32 v7, v5
	s_delay_alu instid0(VALU_DEP_2) | instskip(SKIP_2) | instid1(VALU_DEP_3)
	v_dual_mov_b32 v52, v10 :: v_dual_mov_b32 v51, v9
	s_waitcnt vmcnt(8)
	v_mul_f64 v[5:6], v[21:22], v[9:10]
	v_dual_mov_b32 v50, v8 :: v_dual_mov_b32 v49, v7
	s_waitcnt vmcnt(6)
	v_mul_f64 v[7:8], v[27:28], v[47:48]
	v_mul_f64 v[1:2], v[23:24], v[9:10]
	;; [unrolled: 1-line block ×3, first 2 shown]
	s_waitcnt vmcnt(4)
	v_mul_f64 v[11:12], v[31:32], v[43:44]
	v_fma_f64 v[84:85], v[23:24], v[49:50], -v[5:6]
	s_waitcnt vmcnt(2)
	v_mul_f64 v[5:6], v[35:36], v[19:20]
	v_fma_f64 v[86:87], v[25:26], v[45:46], v[7:8]
	v_mul_f64 v[7:8], v[33:34], v[19:20]
	v_fma_f64 v[88:89], v[27:28], v[45:46], -v[9:10]
	global_load_b128 v[25:28], v[3:4], off
	v_fma_f64 v[82:83], v[21:22], v[49:50], v[1:2]
	v_mul_f64 v[1:2], v[29:30], v[43:44]
	s_waitcnt vmcnt(1)
	v_mul_f64 v[9:10], v[39:40], v[15:16]
	v_fma_f64 v[95:96], v[29:30], v[41:42], v[11:12]
	v_fma_f64 v[99:100], v[33:34], v[17:18], v[5:6]
	v_fma_f64 v[101:102], v[35:36], v[17:18], -v[7:8]
	global_load_b128 v[5:8], v247, s[8:9] offset:2560
	v_fma_f64 v[97:98], v[31:32], v[41:42], -v[1:2]
	v_mul_f64 v[1:2], v[37:38], v[15:16]
	v_fma_f64 v[103:104], v[37:38], v[13:14], v[9:10]
	s_delay_alu instid0(VALU_DEP_2)
	v_fma_f64 v[105:106], v[39:40], v[13:14], -v[1:2]
	s_waitcnt vmcnt(0)
	v_mov_b32_e32 v10, v8
	v_dual_mov_b32 v9, v7 :: v_dual_mov_b32 v8, v6
	v_mov_b32_e32 v7, v5
	scratch_store_b128 off, v[13:16], off   ; 16-byte Folded Spill
	v_mul_f64 v[1:2], v[27:28], v[9:10]
	v_mul_f64 v[5:6], v[25:26], v[9:10]
	scratch_store_b128 off, v[7:10], off offset:16 ; 16-byte Folded Spill
	v_fma_f64 v[107:108], v[25:26], v[7:8], v[1:2]
	v_add_co_u32 v1, vcc_lo, v3, s4
	v_add_co_ci_u32_e32 v2, vcc_lo, s5, v4, vcc_lo
	v_fma_f64 v[109:110], v[27:28], v[7:8], -v[5:6]
	global_load_b128 v[7:10], v247, s[8:9] offset:3072
	scratch_store_b128 off, v[17:20], off offset:64 ; 16-byte Folded Spill
	global_load_b128 v[29:32], v[1:2], off
	v_add_co_u32 v1, vcc_lo, v1, s4
	v_add_co_ci_u32_e32 v2, vcc_lo, s5, v2, vcc_lo
	global_load_b128 v[33:36], v[1:2], off
	v_add_co_u32 v1, vcc_lo, v1, s4
	v_add_co_ci_u32_e32 v2, vcc_lo, s5, v2, vcc_lo
	;; [unrolled: 3-line block ×3, first 2 shown]
	s_waitcnt vmcnt(3)
	scratch_store_b128 off, v[7:10], off offset:32 ; 16-byte Folded Spill
	s_waitcnt vmcnt(2)
	v_mul_f64 v[3:4], v[31:32], v[9:10]
	v_mul_f64 v[5:6], v[29:30], v[9:10]
	s_delay_alu instid0(VALU_DEP_2) | instskip(NEXT) | instid1(VALU_DEP_2)
	v_fma_f64 v[111:112], v[29:30], v[7:8], v[3:4]
	v_fma_f64 v[113:114], v[31:32], v[7:8], -v[5:6]
	global_load_b128 v[7:10], v247, s[8:9] offset:3584
	scratch_store_b128 off, v[41:44], off offset:112 ; 16-byte Folded Spill
	global_load_b128 v[41:44], v[1:2], off
	s_waitcnt vmcnt(1)
	scratch_store_b128 off, v[7:10], off offset:48 ; 16-byte Folded Spill
	v_mul_f64 v[3:4], v[35:36], v[9:10]
	v_mul_f64 v[5:6], v[33:34], v[9:10]
	s_delay_alu instid0(VALU_DEP_2) | instskip(SKIP_1) | instid1(VALU_DEP_3)
	v_fma_f64 v[115:116], v[33:34], v[7:8], v[3:4]
	v_or_b32_e32 v3, 0x1000, v247
	v_fma_f64 v[117:118], v[35:36], v[7:8], -v[5:6]
	global_load_b128 v[7:10], v3, s[8:9]
	scratch_store_b128 off, v[45:48], off offset:160 ; 16-byte Folded Spill
	s_waitcnt vmcnt(0)
	scratch_store_b128 off, v[7:10], off offset:80 ; 16-byte Folded Spill
	v_mul_f64 v[3:4], v[39:40], v[9:10]
	v_mul_f64 v[5:6], v[37:38], v[9:10]
	s_delay_alu instid0(VALU_DEP_2) | instskip(SKIP_1) | instid1(VALU_DEP_3)
	v_fma_f64 v[119:120], v[37:38], v[7:8], v[3:4]
	v_or_b32_e32 v3, 0x1200, v247
	v_fma_f64 v[121:122], v[39:40], v[7:8], -v[5:6]
	global_load_b128 v[7:10], v3, s[8:9]
	scratch_store_b128 off, v[49:52], off offset:304 ; 16-byte Folded Spill
	s_waitcnt vmcnt(0)
	scratch_store_b128 off, v[7:10], off offset:96 ; 16-byte Folded Spill
	v_mul_f64 v[3:4], v[43:44], v[9:10]
	v_mul_f64 v[5:6], v[41:42], v[9:10]
	s_delay_alu instid0(VALU_DEP_2) | instskip(SKIP_2) | instid1(VALU_DEP_3)
	v_fma_f64 v[123:124], v[41:42], v[7:8], v[3:4]
	v_mad_u64_u32 v[3:4], null, 0xffffef00, s12, v[1:2]
	s_sub_i32 s12, s13, s12
	v_fma_f64 v[125:126], v[43:44], v[7:8], -v[5:6]
	global_load_b128 v[7:10], v247, s[8:9] offset:256
	s_mov_b32 s13, 0xbfe2cf23
	v_add_nc_u32_e32 v4, s12, v4
	global_load_b128 v[45:48], v[3:4], off
	s_waitcnt vmcnt(1)
	scratch_store_b128 off, v[7:10], off offset:128 ; 16-byte Folded Spill
	s_waitcnt vmcnt(0)
	v_mul_f64 v[1:2], v[47:48], v[9:10]
	v_mul_f64 v[5:6], v[45:46], v[9:10]
	s_delay_alu instid0(VALU_DEP_2) | instskip(SKIP_2) | instid1(VALU_DEP_4)
	v_fma_f64 v[127:128], v[45:46], v[7:8], v[1:2]
	v_add_co_u32 v1, vcc_lo, v3, s4
	v_add_co_ci_u32_e32 v2, vcc_lo, s5, v4, vcc_lo
	v_fma_f64 v[129:130], v[47:48], v[7:8], -v[5:6]
	global_load_b128 v[7:10], v247, s[8:9] offset:768
	global_load_b128 v[49:52], v[1:2], off
	v_add_co_u32 v1, vcc_lo, v1, s4
	v_add_co_ci_u32_e32 v2, vcc_lo, s5, v2, vcc_lo
	global_load_b128 v[53:56], v[1:2], off
	v_add_co_u32 v1, vcc_lo, v1, s4
	v_add_co_ci_u32_e32 v2, vcc_lo, s5, v2, vcc_lo
	;; [unrolled: 3-line block ×8, first 2 shown]
	v_cmp_gt_u32_e32 vcc_lo, 10, v173
	s_waitcnt vmcnt(8)
	scratch_store_b128 off, v[7:10], off offset:144 ; 16-byte Folded Spill
	s_waitcnt vmcnt(7)
	v_mul_f64 v[3:4], v[51:52], v[9:10]
	v_mul_f64 v[5:6], v[49:50], v[9:10]
	s_delay_alu instid0(VALU_DEP_2) | instskip(NEXT) | instid1(VALU_DEP_2)
	v_fma_f64 v[131:132], v[49:50], v[7:8], v[3:4]
	v_fma_f64 v[133:134], v[51:52], v[7:8], -v[5:6]
	global_load_b128 v[7:10], v247, s[8:9] offset:1280
	s_waitcnt vmcnt(0)
	v_mul_f64 v[3:4], v[55:56], v[9:10]
	v_mul_f64 v[5:6], v[53:54], v[9:10]
	scratch_store_b128 off, v[7:10], off offset:176 ; 16-byte Folded Spill
	v_fma_f64 v[135:136], v[53:54], v[7:8], v[3:4]
	v_fma_f64 v[137:138], v[55:56], v[7:8], -v[5:6]
	global_load_b128 v[7:10], v247, s[8:9] offset:1792
	s_waitcnt vmcnt(0)
	v_mul_f64 v[3:4], v[59:60], v[9:10]
	v_mul_f64 v[5:6], v[57:58], v[9:10]
	scratch_store_b128 off, v[7:10], off offset:192 ; 16-byte Folded Spill
	;; [unrolled: 7-line block ×5, first 2 shown]
	v_fma_f64 v[151:152], v[69:70], v[7:8], v[3:4]
	v_fma_f64 v[153:154], v[71:72], v[7:8], -v[5:6]
	global_load_b128 v[7:10], v247, s[8:9] offset:3840
	s_waitcnt vmcnt(0)
	v_mul_f64 v[3:4], v[75:76], v[9:10]
	v_mul_f64 v[5:6], v[73:74], v[9:10]
	s_delay_alu instid0(VALU_DEP_2)
	v_fma_f64 v[155:156], v[73:74], v[7:8], v[3:4]
	v_or_b32_e32 v3, 0x1100, v247
	scratch_store_b128 off, v[7:10], off offset:256 ; 16-byte Folded Spill
	v_fma_f64 v[157:158], v[75:76], v[7:8], -v[5:6]
	scratch_store_b32 off, v3, off offset:344 ; 4-byte Folded Spill
	global_load_b128 v[7:10], v3, s[8:9]
	s_waitcnt vmcnt(0)
	v_mul_f64 v[3:4], v[79:80], v[9:10]
	v_mul_f64 v[5:6], v[77:78], v[9:10]
	s_delay_alu instid0(VALU_DEP_2)
	v_fma_f64 v[159:160], v[77:78], v[7:8], v[3:4]
	v_or_b32_e32 v3, 0x1300, v247
	scratch_store_b128 off, v[7:10], off offset:272 ; 16-byte Folded Spill
	v_fma_f64 v[161:162], v[79:80], v[7:8], -v[5:6]
	scratch_store_b32 off, v3, off offset:340 ; 4-byte Folded Spill
	global_load_b128 v[163:166], v[1:2], off
	global_load_b128 v[5:8], v3, s[8:9]
	s_mov_b32 s8, 0x4755a5e
	s_mov_b32 s9, 0x3fe2cf23
	;; [unrolled: 1-line block ×3, first 2 shown]
	s_waitcnt vmcnt(0)
	v_mul_f64 v[1:2], v[165:166], v[7:8]
	v_mul_f64 v[3:4], v[163:164], v[7:8]
	scratch_store_b128 off, v[5:8], off offset:288 ; 16-byte Folded Spill
	v_fma_f64 v[163:164], v[163:164], v[5:6], v[1:2]
	v_fma_f64 v[165:166], v[165:166], v[5:6], -v[3:4]
	v_or_b32_e32 v1, v254, v173
	s_delay_alu instid0(VALU_DEP_1)
	v_lshlrev_b32_e32 v246, 4, v1
	ds_store_b128 v246, v[82:85]
	ds_store_b128 v246, v[86:89] offset:512
	ds_store_b128 v245, v[95:98] offset:1024
	;; [unrolled: 1-line block ×19, first 2 shown]
	s_load_b128 s[4:7], s[6:7], 0x0
	s_waitcnt lgkmcnt(0)
	s_waitcnt_vscnt null, 0x0
	s_barrier
	buffer_gl0_inv
	ds_load_b128 v[123:126], v245 offset:1024
	ds_load_b128 v[81:84], v246
	ds_load_b128 v[85:88], v245 offset:2048
	ds_load_b128 v[89:92], v245 offset:3072
	s_waitcnt lgkmcnt(2)
	v_add_f64 v[1:2], v[81:82], v[123:124]
	s_waitcnt lgkmcnt(1)
	v_add_f64 v[107:108], v[123:124], -v[85:86]
	s_waitcnt lgkmcnt(0)
	v_add_f64 v[111:112], v[85:86], v[89:90]
	v_add_f64 v[95:96], v[87:88], -v[91:92]
	v_add_f64 v[103:104], v[85:86], -v[123:124]
	v_add_f64 v[113:114], v[87:88], v[91:92]
	v_add_f64 v[97:98], v[85:86], -v[89:90]
	v_add_f64 v[109:110], v[125:126], -v[87:88]
	;; [unrolled: 1-line block ×3, first 2 shown]
	v_add_f64 v[121:122], v[1:2], v[85:86]
	v_add_f64 v[1:2], v[83:84], v[125:126]
	s_delay_alu instid0(VALU_DEP_1) | instskip(NEXT) | instid1(VALU_DEP_3)
	v_add_f64 v[119:120], v[1:2], v[87:88]
	v_add_f64 v[1:2], v[121:122], v[89:90]
	ds_load_b128 v[85:88], v245 offset:4096
	s_waitcnt lgkmcnt(0)
	v_add_f64 v[99:100], v[125:126], -v[87:88]
	v_add_f64 v[115:116], v[123:124], v[85:86]
	v_add_f64 v[101:102], v[123:124], -v[85:86]
	v_add_f64 v[117:118], v[125:126], v[87:88]
	v_add_f64 v[5:6], v[85:86], -v[89:90]
	v_add_f64 v[7:8], v[89:90], -v[85:86]
	;; [unrolled: 1-line block ×4, first 2 shown]
	v_add_f64 v[3:4], v[119:120], v[91:92]
	v_add_f64 v[1:2], v[1:2], v[85:86]
	;; [unrolled: 1-line block ×3, first 2 shown]
	s_delay_alu instid0(VALU_DEP_4) | instskip(NEXT) | instid1(VALU_DEP_4)
	v_add_f64 v[11:12], v[105:106], v[11:12]
	v_add_f64 v[3:4], v[3:4], v[87:88]
	ds_load_b128 v[85:88], v246 offset:512
	ds_load_b128 v[89:92], v245 offset:1536
	;; [unrolled: 1-line block ×4, first 2 shown]
	s_waitcnt lgkmcnt(2)
	v_add_f64 v[13:14], v[85:86], v[89:90]
	v_add_f64 v[15:16], v[87:88], v[91:92]
	s_waitcnt lgkmcnt(1)
	v_add_f64 v[17:18], v[91:92], -v[121:122]
	v_add_f64 v[19:20], v[89:90], v[119:120]
	v_add_f64 v[21:22], v[91:92], v[121:122]
	s_waitcnt lgkmcnt(0)
	v_add_f64 v[23:24], v[89:90], -v[123:124]
	v_add_f64 v[25:26], v[123:124], -v[89:90]
	;; [unrolled: 1-line block ×5, first 2 shown]
	ds_load_b128 v[89:92], v245 offset:3584
	s_waitcnt lgkmcnt(0)
	v_add_f64 v[33:34], v[123:124], v[89:90]
	v_add_f64 v[35:36], v[125:126], -v[91:92]
	v_add_f64 v[37:38], v[125:126], v[91:92]
	v_add_f64 v[39:40], v[123:124], -v[89:90]
	v_add_f64 v[41:42], v[119:120], -v[89:90]
	;; [unrolled: 1-line block ×5, first 2 shown]
	v_add_f64 v[13:14], v[13:14], v[123:124]
	v_add_f64 v[15:16], v[15:16], v[125:126]
	v_fma_f64 v[19:20], v[19:20], -0.5, v[85:86]
	v_fma_f64 v[21:22], v[21:22], -0.5, v[87:88]
	;; [unrolled: 1-line block ×4, first 2 shown]
	v_add_f64 v[13:14], v[13:14], v[89:90]
	v_add_f64 v[15:16], v[15:16], v[91:92]
	s_delay_alu instid0(VALU_DEP_2) | instskip(NEXT) | instid1(VALU_DEP_2)
	v_add_f64 v[13:14], v[13:14], v[119:120]
	v_add_f64 v[15:16], v[15:16], v[121:122]
	ds_load_b128 v[89:92], v246 offset:256
	ds_load_b128 v[119:122], v245 offset:1280
	;; [unrolled: 1-line block ×4, first 2 shown]
	s_waitcnt lgkmcnt(2)
	v_add_f64 v[49:50], v[89:90], v[119:120]
	v_add_f64 v[51:52], v[91:92], v[121:122]
	s_waitcnt lgkmcnt(1)
	v_add_f64 v[53:54], v[119:120], v[123:124]
	v_add_f64 v[55:56], v[121:122], v[125:126]
	v_add_f64 v[57:58], v[121:122], -v[125:126]
	s_waitcnt lgkmcnt(0)
	v_add_f64 v[59:60], v[119:120], -v[127:128]
	v_add_f64 v[61:62], v[127:128], -v[119:120]
	;; [unrolled: 1-line block ×5, first 2 shown]
	ds_load_b128 v[119:122], v245 offset:3328
	v_add_f64 v[85:86], v[1:2], -v[13:14]
	v_add_f64 v[87:88], v[3:4], -v[15:16]
	s_waitcnt lgkmcnt(0)
	v_add_f64 v[69:70], v[127:128], v[119:120]
	v_add_f64 v[71:72], v[129:130], v[121:122]
	v_add_f64 v[73:74], v[129:130], -v[121:122]
	v_add_f64 v[75:76], v[127:128], -v[119:120]
	;; [unrolled: 1-line block ×6, first 2 shown]
	v_add_f64 v[49:50], v[49:50], v[127:128]
	v_add_f64 v[51:52], v[51:52], v[129:130]
	v_fma_f64 v[53:54], v[53:54], -0.5, v[89:90]
	v_fma_f64 v[55:56], v[55:56], -0.5, v[91:92]
	;; [unrolled: 1-line block ×4, first 2 shown]
	v_add_f64 v[49:50], v[49:50], v[119:120]
	v_add_f64 v[51:52], v[51:52], v[121:122]
	s_delay_alu instid0(VALU_DEP_2) | instskip(NEXT) | instid1(VALU_DEP_2)
	v_add_f64 v[49:50], v[49:50], v[123:124]
	v_add_f64 v[51:52], v[51:52], v[125:126]
	ds_load_b128 v[119:122], v246 offset:768
	ds_load_b128 v[123:126], v245 offset:1792
	;; [unrolled: 1-line block ×4, first 2 shown]
	s_waitcnt lgkmcnt(2)
	v_add_f64 v[137:138], v[119:120], v[123:124]
	v_add_f64 v[141:142], v[121:122], v[125:126]
	s_waitcnt lgkmcnt(1)
	v_add_f64 v[155:156], v[125:126], -v[129:130]
	s_waitcnt lgkmcnt(0)
	v_add_f64 v[143:144], v[123:124], -v[131:132]
	v_add_f64 v[145:146], v[123:124], v[127:128]
	v_add_f64 v[147:148], v[131:132], -v[123:124]
	v_add_f64 v[157:158], v[123:124], -v[127:128]
	;; [unrolled: 1-line block ×3, first 2 shown]
	v_add_f64 v[151:152], v[125:126], v[129:130]
	v_add_f64 v[153:154], v[133:134], -v[125:126]
	ds_load_b128 v[123:126], v245 offset:3840
	s_waitcnt lgkmcnt(0)
	s_barrier
	buffer_gl0_inv
	v_add_f64 v[159:160], v[131:132], v[123:124]
	v_add_f64 v[163:164], v[131:132], -v[123:124]
	v_add_f64 v[161:162], v[133:134], v[125:126]
	v_add_f64 v[165:166], v[133:134], -v[125:126]
	v_add_f64 v[167:168], v[129:130], -v[125:126]
	;; [unrolled: 1-line block ×3, first 2 shown]
	v_add_f64 v[137:138], v[137:138], v[131:132]
	v_add_f64 v[141:142], v[141:142], v[133:134]
	v_fma_f64 v[171:172], v[145:146], -0.5, v[119:120]
	v_fma_f64 v[151:152], v[151:152], -0.5, v[121:122]
	;; [unrolled: 1-line block ×4, first 2 shown]
	v_add_f64 v[131:132], v[137:138], v[123:124]
	v_add_f64 v[133:134], v[141:142], v[125:126]
	v_add_f64 v[137:138], v[127:128], -v[123:124]
	v_add_f64 v[141:142], v[123:124], -v[127:128]
	s_delay_alu instid0(VALU_DEP_4)
	v_add_f64 v[123:124], v[131:132], v[127:128]
	v_fma_f64 v[131:132], v[111:112], -0.5, v[81:82]
	v_fma_f64 v[127:128], v[115:116], -0.5, v[81:82]
	v_add_f64 v[81:82], v[1:2], v[13:14]
	v_fma_f64 v[13:14], v[17:18], s[16:17], v[33:34]
	v_add_f64 v[125:126], v[133:134], v[129:130]
	v_fma_f64 v[133:134], v[113:114], -0.5, v[83:84]
	v_fma_f64 v[129:130], v[117:118], -0.5, v[83:84]
	v_add_f64 v[83:84], v[3:4], v[15:16]
	v_add_f64 v[1:2], v[107:108], v[5:6]
	;; [unrolled: 1-line block ×3, first 2 shown]
	v_fma_f64 v[15:16], v[27:28], s[18:19], v[37:38]
	v_add_f64 v[3:4], v[109:110], v[9:10]
	v_add_f64 v[9:10], v[29:30], v[45:46]
	;; [unrolled: 1-line block ×3, first 2 shown]
	v_add_f64 v[111:112], v[49:50], -v[123:124]
	v_fma_f64 v[13:14], v[35:36], s[8:9], v[13:14]
	v_add_f64 v[91:92], v[51:52], v[125:126]
	v_fma_f64 v[29:30], v[101:102], s[18:19], v[133:134]
	v_add_f64 v[113:114], v[51:52], -v[125:126]
	v_fma_f64 v[15:16], v[39:40], s[12:13], v[15:16]
	v_fma_f64 v[13:14], v[5:6], s[14:15], v[13:14]
	s_delay_alu instid0(VALU_DEP_4) | instskip(NEXT) | instid1(VALU_DEP_3)
	v_fma_f64 v[29:30], v[97:98], s[12:13], v[29:30]
	v_fma_f64 v[15:16], v[9:10], s[14:15], v[15:16]
	s_delay_alu instid0(VALU_DEP_3) | instskip(SKIP_1) | instid1(VALU_DEP_4)
	v_mul_f64 v[23:24], v[13:14], s[20:21]
	v_mul_f64 v[13:14], v[13:14], s[12:13]
	v_fma_f64 v[29:30], v[3:4], s[14:15], v[29:30]
	s_delay_alu instid0(VALU_DEP_3) | instskip(NEXT) | instid1(VALU_DEP_3)
	v_fma_f64 v[23:24], v[15:16], s[8:9], v[23:24]
	v_fma_f64 v[13:14], v[15:16], s[20:21], v[13:14]
	;; [unrolled: 1-line block ×3, first 2 shown]
	s_delay_alu instid0(VALU_DEP_2) | instskip(NEXT) | instid1(VALU_DEP_2)
	v_add_f64 v[109:110], v[29:30], v[13:14]
	v_fma_f64 v[15:16], v[95:96], s[8:9], v[15:16]
	v_add_f64 v[117:118], v[29:30], -v[13:14]
	v_add_f64 v[13:14], v[25:26], v[43:44]
	v_fma_f64 v[25:26], v[35:36], s[18:19], v[19:20]
	v_fma_f64 v[19:20], v[35:36], s[16:17], v[19:20]
	;; [unrolled: 1-line block ×3, first 2 shown]
	s_delay_alu instid0(VALU_DEP_3) | instskip(NEXT) | instid1(VALU_DEP_3)
	v_fma_f64 v[25:26], v[17:18], s[8:9], v[25:26]
	v_fma_f64 v[19:20], v[17:18], s[12:13], v[19:20]
	s_delay_alu instid0(VALU_DEP_3)
	v_add_f64 v[107:108], v[15:16], v[23:24]
	v_add_f64 v[115:116], v[15:16], -v[23:24]
	v_fma_f64 v[23:24], v[39:40], s[16:17], v[21:22]
	v_add_f64 v[15:16], v[31:32], v[47:48]
	v_fma_f64 v[25:26], v[13:14], s[14:15], v[25:26]
	v_fma_f64 v[13:14], v[13:14], s[14:15], v[19:20]
	;; [unrolled: 1-line block ×5, first 2 shown]
	s_delay_alu instid0(VALU_DEP_3) | instskip(NEXT) | instid1(VALU_DEP_3)
	v_fma_f64 v[19:20], v[27:28], s[8:9], v[19:20]
	v_fma_f64 v[31:32], v[101:102], s[12:13], v[31:32]
	s_delay_alu instid0(VALU_DEP_3) | instskip(NEXT) | instid1(VALU_DEP_3)
	v_fma_f64 v[23:24], v[15:16], s[14:15], v[23:24]
	v_fma_f64 v[15:16], v[15:16], s[14:15], v[19:20]
	;; [unrolled: 1-line block ×3, first 2 shown]
	s_delay_alu instid0(VALU_DEP_4) | instskip(NEXT) | instid1(VALU_DEP_4)
	v_fma_f64 v[31:32], v[11:12], s[14:15], v[31:32]
	v_mul_f64 v[29:30], v[23:24], s[16:17]
	s_delay_alu instid0(VALU_DEP_3) | instskip(NEXT) | instid1(VALU_DEP_2)
	v_fma_f64 v[19:20], v[99:100], s[12:13], v[19:20]
	v_fma_f64 v[29:30], v[25:26], s[14:15], v[29:30]
	v_mul_f64 v[25:26], v[25:26], s[18:19]
	s_delay_alu instid0(VALU_DEP_1) | instskip(SKIP_1) | instid1(VALU_DEP_2)
	v_fma_f64 v[23:24], v[23:24], s[14:15], v[25:26]
	v_fma_f64 v[25:26], v[95:96], s[18:19], v[127:128]
	v_add_f64 v[105:106], v[31:32], v[23:24]
	s_delay_alu instid0(VALU_DEP_2) | instskip(SKIP_2) | instid1(VALU_DEP_3)
	v_fma_f64 v[25:26], v[99:100], s[8:9], v[25:26]
	v_add_f64 v[121:122], v[31:32], -v[23:24]
	v_fma_f64 v[23:24], v[75:76], s[16:17], v[55:56]
	v_fma_f64 v[25:26], v[7:8], s[14:15], v[25:26]
	;; [unrolled: 1-line block ×4, first 2 shown]
	s_delay_alu instid0(VALU_DEP_4) | instskip(NEXT) | instid1(VALU_DEP_4)
	v_fma_f64 v[23:24], v[63:64], s[12:13], v[23:24]
	v_add_f64 v[103:104], v[25:26], v[29:30]
	v_add_f64 v[119:120], v[25:26], -v[29:30]
	s_delay_alu instid0(VALU_DEP_4) | instskip(NEXT) | instid1(VALU_DEP_1)
	v_fma_f64 v[19:20], v[101:102], s[8:9], v[19:20]
	v_fma_f64 v[11:12], v[11:12], s[14:15], v[19:20]
	v_mul_f64 v[19:20], v[13:14], s[22:23]
	s_delay_alu instid0(VALU_DEP_1) | instskip(SKIP_1) | instid1(VALU_DEP_2)
	v_fma_f64 v[19:20], v[15:16], s[16:17], v[19:20]
	v_mul_f64 v[15:16], v[15:16], s[22:23]
	v_add_f64 v[123:124], v[7:8], v[19:20]
	s_delay_alu instid0(VALU_DEP_2)
	v_fma_f64 v[13:14], v[13:14], s[18:19], v[15:16]
	v_add_f64 v[127:128], v[7:8], -v[19:20]
	v_fma_f64 v[7:8], v[17:18], s[18:19], v[33:34]
	v_fma_f64 v[15:16], v[101:102], s[16:17], v[133:134]
	;; [unrolled: 1-line block ×4, first 2 shown]
	v_add_f64 v[125:126], v[11:12], v[13:14]
	v_add_f64 v[129:130], v[11:12], -v[13:14]
	v_fma_f64 v[11:12], v[27:28], s[16:17], v[37:38]
	v_fma_f64 v[7:8], v[35:36], s[12:13], v[7:8]
	;; [unrolled: 1-line block ×12, first 2 shown]
	v_mul_f64 v[9:10], v[5:6], s[24:25]
	v_fma_f64 v[1:2], v[1:2], s[14:15], v[13:14]
	v_fma_f64 v[11:12], v[157:158], s[18:19], v[161:162]
	;; [unrolled: 1-line block ×3, first 2 shown]
	s_delay_alu instid0(VALU_DEP_4) | instskip(SKIP_1) | instid1(VALU_DEP_4)
	v_fma_f64 v[9:10], v[7:8], s[8:9], v[9:10]
	v_mul_f64 v[7:8], v[7:8], s[24:25]
	v_fma_f64 v[11:12], v[163:164], s[12:13], v[11:12]
	s_delay_alu instid0(VALU_DEP_3) | instskip(NEXT) | instid1(VALU_DEP_3)
	v_add_f64 v[95:96], v[1:2], v[9:10]
	v_fma_f64 v[5:6], v[5:6], s[12:13], v[7:8]
	v_add_f64 v[99:100], v[1:2], -v[9:10]
	v_fma_f64 v[9:10], v[155:156], s[16:17], v[159:160]
	v_add_f64 v[7:8], v[149:150], v[167:168]
	v_add_f64 v[1:2], v[59:60], v[77:78]
	;; [unrolled: 1-line block ×3, first 2 shown]
	v_add_f64 v[101:102], v[3:4], -v[5:6]
	v_add_f64 v[5:6], v[143:144], v[137:138]
	v_fma_f64 v[9:10], v[165:166], s[8:9], v[9:10]
	v_fma_f64 v[11:12], v[7:8], s[14:15], v[11:12]
	v_add_f64 v[3:4], v[65:66], v[135:136]
	s_delay_alu instid0(VALU_DEP_3) | instskip(NEXT) | instid1(VALU_DEP_2)
	v_fma_f64 v[9:10], v[5:6], s[14:15], v[9:10]
	v_fma_f64 v[15:16], v[3:4], s[14:15], v[15:16]
	s_delay_alu instid0(VALU_DEP_2) | instskip(SKIP_1) | instid1(VALU_DEP_2)
	v_mul_f64 v[13:14], v[9:10], s[20:21]
	v_mul_f64 v[9:10], v[9:10], s[12:13]
	v_fma_f64 v[13:14], v[11:12], s[8:9], v[13:14]
	s_delay_alu instid0(VALU_DEP_2) | instskip(SKIP_1) | instid1(VALU_DEP_2)
	v_fma_f64 v[9:10], v[11:12], s[20:21], v[9:10]
	v_fma_f64 v[11:12], v[57:58], s[16:17], v[69:70]
	v_add_f64 v[133:134], v[15:16], v[9:10]
	s_delay_alu instid0(VALU_DEP_2) | instskip(SKIP_3) | instid1(VALU_DEP_4)
	v_fma_f64 v[11:12], v[73:74], s[8:9], v[11:12]
	v_add_f64 v[137:138], v[15:16], -v[9:10]
	v_add_f64 v[15:16], v[153:154], v[169:170]
	v_add_f64 v[9:10], v[61:62], v[79:80]
	v_fma_f64 v[11:12], v[1:2], s[14:15], v[11:12]
	s_delay_alu instid0(VALU_DEP_3) | instskip(NEXT) | instid1(VALU_DEP_2)
	v_fma_f64 v[17:18], v[15:16], s[14:15], v[17:18]
	v_add_f64 v[131:132], v[11:12], v[13:14]
	v_add_f64 v[135:136], v[11:12], -v[13:14]
	v_add_f64 v[13:14], v[147:148], v[141:142]
	s_delay_alu instid0(VALU_DEP_4) | instskip(SKIP_1) | instid1(VALU_DEP_3)
	v_mul_f64 v[21:22], v[17:18], s[16:17]
	v_add_f64 v[11:12], v[67:68], v[139:140]
	v_fma_f64 v[19:20], v[13:14], s[14:15], v[19:20]
	s_delay_alu instid0(VALU_DEP_2) | instskip(NEXT) | instid1(VALU_DEP_2)
	v_fma_f64 v[23:24], v[11:12], s[14:15], v[23:24]
	v_fma_f64 v[21:22], v[19:20], s[14:15], v[21:22]
	v_mul_f64 v[19:20], v[19:20], s[18:19]
	s_delay_alu instid0(VALU_DEP_1) | instskip(SKIP_1) | instid1(VALU_DEP_2)
	v_fma_f64 v[17:18], v[17:18], s[14:15], v[19:20]
	v_fma_f64 v[19:20], v[73:74], s[18:19], v[53:54]
	v_add_f64 v[141:142], v[23:24], v[17:18]
	v_add_f64 v[145:146], v[23:24], -v[17:18]
	v_fma_f64 v[17:18], v[165:166], s[16:17], v[171:172]
	s_delay_alu instid0(VALU_DEP_4) | instskip(NEXT) | instid1(VALU_DEP_2)
	v_fma_f64 v[19:20], v[57:58], s[8:9], v[19:20]
	v_fma_f64 v[17:18], v[155:156], s[12:13], v[17:18]
	s_delay_alu instid0(VALU_DEP_2) | instskip(NEXT) | instid1(VALU_DEP_2)
	v_fma_f64 v[19:20], v[9:10], s[14:15], v[19:20]
	v_fma_f64 v[13:14], v[13:14], s[14:15], v[17:18]
	;; [unrolled: 1-line block ×3, first 2 shown]
	s_delay_alu instid0(VALU_DEP_3) | instskip(SKIP_1) | instid1(VALU_DEP_3)
	v_add_f64 v[139:140], v[19:20], v[21:22]
	v_add_f64 v[143:144], v[19:20], -v[21:22]
	v_fma_f64 v[17:18], v[157:158], s[8:9], v[17:18]
	s_delay_alu instid0(VALU_DEP_1) | instskip(SKIP_1) | instid1(VALU_DEP_1)
	v_fma_f64 v[15:16], v[15:16], s[14:15], v[17:18]
	v_fma_f64 v[17:18], v[73:74], s[16:17], v[53:54]
	;; [unrolled: 1-line block ×3, first 2 shown]
	s_delay_alu instid0(VALU_DEP_1) | instskip(SKIP_1) | instid1(VALU_DEP_1)
	v_fma_f64 v[9:10], v[9:10], s[14:15], v[17:18]
	v_fma_f64 v[17:18], v[75:76], s[18:19], v[55:56]
	;; [unrolled: 1-line block ×3, first 2 shown]
	s_delay_alu instid0(VALU_DEP_1) | instskip(SKIP_1) | instid1(VALU_DEP_1)
	v_fma_f64 v[11:12], v[11:12], s[14:15], v[17:18]
	v_mul_f64 v[17:18], v[13:14], s[22:23]
	v_fma_f64 v[17:18], v[15:16], s[16:17], v[17:18]
	v_mul_f64 v[15:16], v[15:16], s[22:23]
	s_delay_alu instid0(VALU_DEP_2) | instskip(NEXT) | instid1(VALU_DEP_2)
	v_add_f64 v[147:148], v[9:10], v[17:18]
	v_fma_f64 v[13:14], v[13:14], s[18:19], v[15:16]
	v_add_f64 v[151:152], v[9:10], -v[17:18]
	v_fma_f64 v[9:10], v[155:156], s[18:19], v[159:160]
	v_fma_f64 v[15:16], v[63:64], s[16:17], v[71:72]
	s_delay_alu instid0(VALU_DEP_4)
	v_add_f64 v[149:150], v[11:12], v[13:14]
	v_add_f64 v[153:154], v[11:12], -v[13:14]
	v_fma_f64 v[11:12], v[157:158], s[16:17], v[161:162]
	v_fma_f64 v[9:10], v[165:166], s[12:13], v[9:10]
	;; [unrolled: 1-line block ×4, first 2 shown]
	s_delay_alu instid0(VALU_DEP_4) | instskip(NEXT) | instid1(VALU_DEP_4)
	v_fma_f64 v[11:12], v[163:164], s[8:9], v[11:12]
	v_fma_f64 v[5:6], v[5:6], s[14:15], v[9:10]
	s_delay_alu instid0(VALU_DEP_4) | instskip(NEXT) | instid1(VALU_DEP_4)
	v_fma_f64 v[13:14], v[73:74], s[12:13], v[13:14]
	v_fma_f64 v[3:4], v[3:4], s[14:15], v[15:16]
	v_mov_b32_e32 v16, v173
	s_delay_alu instid0(VALU_DEP_1) | instskip(SKIP_3) | instid1(VALU_DEP_2)
	v_mov_b32_e32 v26, v16
	v_fma_f64 v[7:8], v[7:8], s[14:15], v[11:12]
	v_mul_f64 v[9:10], v[5:6], s[24:25]
	v_fma_f64 v[1:2], v[1:2], s[14:15], v[13:14]
	v_fma_f64 v[9:10], v[7:8], s[8:9], v[9:10]
	v_mul_f64 v[7:8], v[7:8], s[24:25]
	s_delay_alu instid0(VALU_DEP_2) | instskip(NEXT) | instid1(VALU_DEP_2)
	v_add_f64 v[155:156], v[1:2], v[9:10]
	v_fma_f64 v[5:6], v[5:6], s[12:13], v[7:8]
	v_add_f64 v[159:160], v[1:2], -v[9:10]
	v_mul_u32_u24_e32 v1, 10, v173
	v_or_b32_e32 v9, 16, v173
	s_delay_alu instid0(VALU_DEP_2) | instskip(NEXT) | instid1(VALU_DEP_2)
	v_add_lshl_u32 v253, v254, v1, 4
	v_mul_u32_u24_e32 v1, 10, v9
	ds_store_b128 v253, v[81:84]
	ds_store_b128 v253, v[85:88] offset:80
	ds_store_b128 v253, v[107:110] offset:16
	;; [unrolled: 1-line block ×9, first 2 shown]
	v_add_lshl_u32 v252, v254, v1, 4
	v_add_nc_u32_e32 v1, -10, v173
	v_mul_lo_u16 v10, v9, 26
	s_delay_alu instid0(VALU_DEP_2) | instskip(NEXT) | instid1(VALU_DEP_2)
	v_cndmask_b32_e32 v199, v1, v173, vcc_lo
	v_lshrrev_b16 v195, 8, v10
	s_delay_alu instid0(VALU_DEP_2) | instskip(SKIP_1) | instid1(VALU_DEP_3)
	v_mul_i32_i24_e32 v1, 48, v199
	v_mul_hi_i32_i24_e32 v2, 48, v199
	v_mul_lo_u16 v10, v195, 10
	s_delay_alu instid0(VALU_DEP_3) | instskip(NEXT) | instid1(VALU_DEP_3)
	v_add_co_u32 v1, vcc_lo, s10, v1
	v_add_co_ci_u32_e32 v2, vcc_lo, s11, v2, vcc_lo
	s_delay_alu instid0(VALU_DEP_3)
	v_sub_nc_u16 v196, v9, v10
	v_cmp_lt_u32_e32 vcc_lo, 9, v16
	v_add_f64 v[157:158], v[3:4], v[5:6]
	v_add_f64 v[161:162], v[3:4], -v[5:6]
	ds_store_b128 v252, v[89:92]
	ds_store_b128 v252, v[131:134] offset:16
	ds_store_b128 v252, v[139:142] offset:32
	;; [unrolled: 1-line block ×9, first 2 shown]
	s_waitcnt lgkmcnt(0)
	s_barrier
	buffer_gl0_inv
	s_clause 0x1
	global_load_b128 v[248:251], v[1:2], off
	global_load_b128 v[125:128], v[1:2], off offset:16
	v_and_b32_e32 v11, 0xff, v196
	global_load_b128 v[129:132], v[1:2], off offset:32
	ds_load_b128 v[87:90], v246 offset:1280
	ds_load_b128 v[95:98], v246 offset:1536
	;; [unrolled: 1-line block ×3, first 2 shown]
	v_mad_u64_u32 v[9:10], null, v11, 48, s[10:11]
	ds_load_b128 v[169:172], v246 offset:4608
	ds_load_b128 v[107:110], v246 offset:1792
	;; [unrolled: 1-line block ×5, first 2 shown]
	s_clause 0x2
	global_load_b128 v[133:136], v[9:10], off
	global_load_b128 v[137:140], v[9:10], off offset:16
	global_load_b128 v[141:144], v[9:10], off offset:32
	s_waitcnt vmcnt(5) lgkmcnt(7)
	v_mul_f64 v[3:4], v[89:90], v[250:251]
	s_waitcnt vmcnt(2) lgkmcnt(6)
	v_mul_f64 v[11:12], v[97:98], v[135:136]
	s_delay_alu instid0(VALU_DEP_2) | instskip(SKIP_1) | instid1(VALU_DEP_1)
	v_fma_f64 v[85:86], v[87:88], v[248:249], -v[3:4]
	v_mul_f64 v[3:4], v[87:88], v[250:251]
	v_fma_f64 v[87:88], v[89:90], v[248:249], v[3:4]
	ds_load_b128 v[89:92], v246 offset:2560
	s_waitcnt lgkmcnt(0)
	v_mul_f64 v[3:4], v[91:92], v[127:128]
	v_mul_f64 v[5:6], v[89:90], v[127:128]
	s_delay_alu instid0(VALU_DEP_2) | instskip(NEXT) | instid1(VALU_DEP_2)
	v_fma_f64 v[3:4], v[89:90], v[125:126], -v[3:4]
	v_fma_f64 v[5:6], v[91:92], v[125:126], v[5:6]
	ds_load_b128 v[89:92], v246 offset:3840
	s_waitcnt lgkmcnt(0)
	v_mul_f64 v[1:2], v[91:92], v[131:132]
	v_mul_f64 v[7:8], v[89:90], v[131:132]
	s_delay_alu instid0(VALU_DEP_2) | instskip(SKIP_2) | instid1(VALU_DEP_4)
	v_fma_f64 v[1:2], v[89:90], v[129:130], -v[1:2]
	v_fma_f64 v[89:90], v[95:96], v[133:134], -v[11:12]
	v_mul_f64 v[11:12], v[95:96], v[135:136]
	v_fma_f64 v[7:8], v[91:92], v[129:130], v[7:8]
	s_delay_alu instid0(VALU_DEP_2) | instskip(SKIP_4) | instid1(VALU_DEP_1)
	v_fma_f64 v[91:92], v[97:98], v[133:134], v[11:12]
	ds_load_b128 v[95:98], v246 offset:2816
	v_add_f64 v[7:8], v[87:88], -v[7:8]
	s_waitcnt vmcnt(1) lgkmcnt(0)
	v_mul_f64 v[11:12], v[97:98], v[139:140]
	v_fma_f64 v[99:100], v[95:96], v[137:138], -v[11:12]
	v_mul_f64 v[11:12], v[95:96], v[139:140]
	s_delay_alu instid0(VALU_DEP_1) | instskip(SKIP_3) | instid1(VALU_DEP_1)
	v_fma_f64 v[101:102], v[97:98], v[137:138], v[11:12]
	ds_load_b128 v[95:98], v246 offset:4096
	s_waitcnt vmcnt(0) lgkmcnt(0)
	v_mul_f64 v[9:10], v[97:98], v[143:144]
	v_fma_f64 v[103:104], v[95:96], v[141:142], -v[9:10]
	v_mul_f64 v[9:10], v[95:96], v[143:144]
	s_delay_alu instid0(VALU_DEP_1) | instskip(SKIP_3) | instid1(VALU_DEP_1)
	v_fma_f64 v[105:106], v[97:98], v[141:142], v[9:10]
	v_mad_u64_u32 v[9:10], null, s6, v93, 0
	scratch_store_b64 off, v[9:10], off offset:328 ; 8-byte Folded Spill
	v_mov_b32_e32 v9, v10
	v_mad_u64_u32 v[10:11], null, s7, v93, v[9:10]
	v_or_b32_e32 v93, 32, v173
	s_delay_alu instid0(VALU_DEP_1) | instskip(SKIP_2) | instid1(VALU_DEP_1)
	v_mul_lo_u16 v9, v93, 26
	scratch_store_b64 off, v[10:11], off offset:320 ; 8-byte Folded Spill
	v_lshrrev_b16 v197, 8, v9
	v_mul_lo_u16 v9, v197, 10
	s_delay_alu instid0(VALU_DEP_1) | instskip(NEXT) | instid1(VALU_DEP_1)
	v_sub_nc_u16 v9, v93, v9
	v_and_b32_e32 v198, 0xff, v9
	s_delay_alu instid0(VALU_DEP_1)
	v_mad_u64_u32 v[9:10], null, v198, 48, s[10:11]
	s_clause 0x2
	global_load_b128 v[145:148], v[9:10], off
	global_load_b128 v[149:152], v[9:10], off offset:16
	global_load_b128 v[153:156], v[9:10], off offset:32
	s_waitcnt vmcnt(2)
	v_mul_f64 v[11:12], v[109:110], v[147:148]
	s_delay_alu instid0(VALU_DEP_1) | instskip(SKIP_1) | instid1(VALU_DEP_1)
	v_fma_f64 v[95:96], v[107:108], v[145:146], -v[11:12]
	v_mul_f64 v[11:12], v[107:108], v[147:148]
	v_fma_f64 v[97:98], v[109:110], v[145:146], v[11:12]
	ds_load_b128 v[107:110], v246 offset:3072
	s_waitcnt vmcnt(1) lgkmcnt(0)
	v_mul_f64 v[11:12], v[109:110], v[151:152]
	s_delay_alu instid0(VALU_DEP_1) | instskip(SKIP_1) | instid1(VALU_DEP_1)
	v_fma_f64 v[111:112], v[107:108], v[149:150], -v[11:12]
	v_mul_f64 v[11:12], v[107:108], v[151:152]
	v_fma_f64 v[115:116], v[109:110], v[149:150], v[11:12]
	ds_load_b128 v[107:110], v246 offset:4352
	s_waitcnt vmcnt(0) lgkmcnt(0)
	v_mul_f64 v[9:10], v[109:110], v[155:156]
	s_delay_alu instid0(VALU_DEP_1) | instskip(SKIP_1) | instid1(VALU_DEP_1)
	v_fma_f64 v[119:120], v[107:108], v[153:154], -v[9:10]
	v_mul_f64 v[9:10], v[107:108], v[155:156]
	v_fma_f64 v[121:122], v[109:110], v[153:154], v[9:10]
	v_mul_lo_u16 v9, v0, 26
	s_delay_alu instid0(VALU_DEP_1) | instskip(NEXT) | instid1(VALU_DEP_1)
	v_lshrrev_b16 v200, 8, v9
	v_mul_lo_u16 v9, v200, 10
	s_delay_alu instid0(VALU_DEP_1) | instskip(NEXT) | instid1(VALU_DEP_1)
	v_sub_nc_u16 v0, v0, v9
	v_and_b32_e32 v201, 0xff, v0
	v_or_b32_e32 v0, 64, v173
	ds_load_b128 v[173:176], v246 offset:2304
	v_mad_u64_u32 v[9:10], null, v201, 48, s[10:11]
	global_load_b128 v[157:160], v[9:10], off
	s_waitcnt vmcnt(0)
	v_mul_f64 v[11:12], v[163:164], v[159:160]
	s_delay_alu instid0(VALU_DEP_1) | instskip(SKIP_1) | instid1(VALU_DEP_1)
	v_fma_f64 v[107:108], v[161:162], v[157:158], -v[11:12]
	v_mul_f64 v[11:12], v[161:162], v[159:160]
	v_fma_f64 v[109:110], v[163:164], v[157:158], v[11:12]
	global_load_b128 v[161:164], v[9:10], off offset:16
	s_waitcnt vmcnt(0)
	v_mul_f64 v[11:12], v[167:168], v[163:164]
	s_delay_alu instid0(VALU_DEP_1) | instskip(SKIP_1) | instid1(VALU_DEP_1)
	v_fma_f64 v[123:124], v[165:166], v[161:162], -v[11:12]
	v_mul_f64 v[11:12], v[165:166], v[163:164]
	v_fma_f64 v[181:182], v[167:168], v[161:162], v[11:12]
	global_load_b128 v[165:168], v[9:10], off offset:32
	s_waitcnt vmcnt(0)
	v_mul_f64 v[9:10], v[171:172], v[167:168]
	s_delay_alu instid0(VALU_DEP_1) | instskip(SKIP_1) | instid1(VALU_DEP_1)
	v_fma_f64 v[185:186], v[169:170], v[165:166], -v[9:10]
	v_mul_f64 v[9:10], v[169:170], v[167:168]
	v_fma_f64 v[189:190], v[171:172], v[165:166], v[9:10]
	v_mul_lo_u16 v9, 0x67, v0
	s_delay_alu instid0(VALU_DEP_1) | instskip(NEXT) | instid1(VALU_DEP_1)
	v_lshrrev_b16 v202, 10, v9
	v_mul_lo_u16 v9, v202, 10
	s_delay_alu instid0(VALU_DEP_1) | instskip(NEXT) | instid1(VALU_DEP_1)
	v_sub_nc_u16 v0, v0, v9
	v_and_b32_e32 v203, 0xff, v0
	v_add_f64 v[0:1], v[85:86], -v[1:2]
	v_cndmask_b32_e64 v2, 0, 40, vcc_lo
	v_cmp_gt_u64_e32 vcc_lo, 40, v[93:94]
	s_delay_alu instid0(VALU_DEP_4) | instskip(NEXT) | instid1(VALU_DEP_3)
	v_mad_u64_u32 v[9:10], null, v203, 48, s[10:11]
	v_add_nc_u32_e32 v2, v199, v2
	global_load_b128 v[169:172], v[9:10], off
	s_waitcnt vmcnt(0) lgkmcnt(0)
	v_mul_f64 v[11:12], v[175:176], v[171:172]
	s_delay_alu instid0(VALU_DEP_1) | instskip(SKIP_1) | instid1(VALU_DEP_1)
	v_fma_f64 v[113:114], v[173:174], v[169:170], -v[11:12]
	v_mul_f64 v[11:12], v[173:174], v[171:172]
	v_fma_f64 v[117:118], v[175:176], v[169:170], v[11:12]
	global_load_b128 v[173:176], v[9:10], off offset:16
	s_waitcnt vmcnt(0)
	v_mul_f64 v[11:12], v[179:180], v[175:176]
	s_delay_alu instid0(VALU_DEP_1) | instskip(SKIP_1) | instid1(VALU_DEP_1)
	v_fma_f64 v[183:184], v[177:178], v[173:174], -v[11:12]
	v_mul_f64 v[11:12], v[177:178], v[175:176]
	v_fma_f64 v[187:188], v[179:180], v[173:174], v[11:12]
	global_load_b128 v[177:180], v[9:10], off offset:32
	s_waitcnt vmcnt(0)
	v_mul_f64 v[9:10], v[206:207], v[179:180]
	s_delay_alu instid0(VALU_DEP_1) | instskip(SKIP_1) | instid1(VALU_DEP_1)
	v_fma_f64 v[191:192], v[204:205], v[177:178], -v[9:10]
	v_mul_f64 v[9:10], v[204:205], v[179:180]
	v_fma_f64 v[193:194], v[206:207], v[177:178], v[9:10]
	ds_load_b128 v[204:207], v246
	ds_load_b128 v[212:215], v246 offset:1024
	ds_load_b128 v[216:219], v246 offset:256
	;; [unrolled: 1-line block ×4, first 2 shown]
	s_waitcnt lgkmcnt(0)
	s_waitcnt_vscnt null, 0x0
	s_barrier
	buffer_gl0_inv
	v_add_f64 v[3:4], v[204:205], -v[3:4]
	v_add_f64 v[5:6], v[206:207], -v[5:6]
	s_delay_alu instid0(VALU_DEP_2) | instskip(SKIP_1) | instid1(VALU_DEP_3)
	v_fma_f64 v[9:10], v[204:205], 2.0, -v[3:4]
	v_add_f64 v[204:205], v[3:4], -v[7:8]
	v_fma_f64 v[11:12], v[206:207], 2.0, -v[5:6]
	v_add_f64 v[206:207], v[5:6], v[0:1]
	v_fma_f64 v[0:1], v[85:86], 2.0, -v[0:1]
	s_delay_alu instid0(VALU_DEP_4) | instskip(SKIP_2) | instid1(VALU_DEP_4)
	v_fma_f64 v[208:209], v[3:4], 2.0, -v[204:205]
	v_add_lshl_u32 v4, v254, v2, 4
	v_fma_f64 v[2:3], v[87:88], 2.0, -v[7:8]
	v_add_f64 v[85:86], v[9:10], -v[0:1]
	v_fma_f64 v[210:211], v[5:6], 2.0, -v[206:207]
	v_add_f64 v[0:1], v[216:217], -v[99:100]
	ds_store_b128 v4, v[204:207] offset:480
	scratch_store_b32 off, v4, off offset:360 ; 4-byte Folded Spill
	v_add_f64 v[87:88], v[11:12], -v[2:3]
	v_fma_f64 v[204:205], v[9:10], 2.0, -v[85:86]
	v_add_f64 v[2:3], v[218:219], -v[101:102]
	v_add_f64 v[8:9], v[89:90], -v[103:104]
	s_delay_alu instid0(VALU_DEP_4)
	v_fma_f64 v[206:207], v[11:12], 2.0, -v[87:88]
	v_add_f64 v[10:11], v[91:92], -v[105:106]
	ds_store_b128 v4, v[85:88] offset:320
	ds_store_b128 v4, v[208:211] offset:160
	ds_store_b128 v4, v[204:207]
	v_fma_f64 v[4:5], v[216:217], 2.0, -v[0:1]
	v_fma_f64 v[6:7], v[218:219], 2.0, -v[2:3]
	;; [unrolled: 1-line block ×4, first 2 shown]
	s_delay_alu instid0(VALU_DEP_2) | instskip(NEXT) | instid1(VALU_DEP_2)
	v_add_f64 v[85:86], v[4:5], -v[12:13]
	v_add_f64 v[87:88], v[6:7], -v[14:15]
	s_delay_alu instid0(VALU_DEP_2) | instskip(NEXT) | instid1(VALU_DEP_2)
	v_fma_f64 v[89:90], v[4:5], 2.0, -v[85:86]
	v_fma_f64 v[91:92], v[6:7], 2.0, -v[87:88]
	v_mad_u16 v4, v195, 40, v196
	s_delay_alu instid0(VALU_DEP_1) | instskip(NEXT) | instid1(VALU_DEP_1)
	v_and_b32_e32 v4, 0xff, v4
	v_add_lshl_u32 v4, v254, v4, 4
	scratch_store_b32 off, v4, off offset:356 ; 4-byte Folded Spill
	ds_store_b128 v4, v[89:92]
	v_add_f64 v[89:90], v[0:1], -v[10:11]
	v_add_f64 v[91:92], v[2:3], v[8:9]
	v_add_f64 v[8:9], v[95:96], -v[119:120]
	v_add_f64 v[10:11], v[97:98], -v[121:122]
	s_delay_alu instid0(VALU_DEP_4) | instskip(NEXT) | instid1(VALU_DEP_4)
	v_fma_f64 v[99:100], v[0:1], 2.0, -v[89:90]
	v_fma_f64 v[101:102], v[2:3], 2.0, -v[91:92]
	v_add_f64 v[0:1], v[220:221], -v[111:112]
	v_add_f64 v[2:3], v[222:223], -v[115:116]
	ds_store_b128 v4, v[99:102] offset:160
	ds_store_b128 v4, v[85:88] offset:320
	;; [unrolled: 1-line block ×3, first 2 shown]
	v_fma_f64 v[4:5], v[220:221], 2.0, -v[0:1]
	v_fma_f64 v[6:7], v[222:223], 2.0, -v[2:3]
	;; [unrolled: 1-line block ×4, first 2 shown]
	s_delay_alu instid0(VALU_DEP_2) | instskip(NEXT) | instid1(VALU_DEP_2)
	v_add_f64 v[85:86], v[4:5], -v[12:13]
	v_add_f64 v[87:88], v[6:7], -v[14:15]
	s_delay_alu instid0(VALU_DEP_2) | instskip(NEXT) | instid1(VALU_DEP_2)
	v_fma_f64 v[89:90], v[4:5], 2.0, -v[85:86]
	v_fma_f64 v[91:92], v[6:7], 2.0, -v[87:88]
	v_and_b32_e32 v4, 0xffff, v197
	s_delay_alu instid0(VALU_DEP_1) | instskip(NEXT) | instid1(VALU_DEP_1)
	v_mul_u32_u24_e32 v4, 40, v4
	v_add_nc_u32_e32 v4, v4, v198
	s_delay_alu instid0(VALU_DEP_1)
	v_add_lshl_u32 v255, v254, v4, 4
	ds_store_b128 v255, v[89:92]
	v_add_f64 v[89:90], v[0:1], -v[10:11]
	v_add_f64 v[91:92], v[2:3], v[8:9]
	v_add_f64 v[8:9], v[107:108], -v[185:186]
	v_add_f64 v[10:11], v[109:110], -v[189:190]
	s_delay_alu instid0(VALU_DEP_4) | instskip(NEXT) | instid1(VALU_DEP_4)
	v_fma_f64 v[95:96], v[0:1], 2.0, -v[89:90]
	v_fma_f64 v[97:98], v[2:3], 2.0, -v[91:92]
	v_add_f64 v[0:1], v[224:225], -v[123:124]
	v_add_f64 v[2:3], v[226:227], -v[181:182]
	v_fma_f64 v[12:13], v[107:108], 2.0, -v[8:9]
	v_fma_f64 v[14:15], v[109:110], 2.0, -v[10:11]
	ds_store_b128 v255, v[95:98] offset:160
	ds_store_b128 v255, v[85:88] offset:320
	;; [unrolled: 1-line block ×3, first 2 shown]
	v_fma_f64 v[4:5], v[224:225], 2.0, -v[0:1]
	v_fma_f64 v[6:7], v[226:227], 2.0, -v[2:3]
	s_delay_alu instid0(VALU_DEP_2) | instskip(NEXT) | instid1(VALU_DEP_2)
	v_add_f64 v[85:86], v[4:5], -v[12:13]
	v_add_f64 v[87:88], v[6:7], -v[14:15]
	s_delay_alu instid0(VALU_DEP_2) | instskip(NEXT) | instid1(VALU_DEP_2)
	v_fma_f64 v[89:90], v[4:5], 2.0, -v[85:86]
	v_fma_f64 v[91:92], v[6:7], 2.0, -v[87:88]
	v_and_b32_e32 v4, 0xffff, v200
	s_delay_alu instid0(VALU_DEP_1) | instskip(NEXT) | instid1(VALU_DEP_1)
	v_mul_u32_u24_e32 v4, 40, v4
	v_add_nc_u32_e32 v4, v4, v201
	s_delay_alu instid0(VALU_DEP_1)
	v_add_lshl_u32 v4, v254, v4, 4
	scratch_store_b32 off, v4, off offset:352 ; 4-byte Folded Spill
	ds_store_b128 v4, v[89:92]
	v_add_f64 v[89:90], v[0:1], -v[10:11]
	v_add_f64 v[91:92], v[2:3], v[8:9]
	v_add_f64 v[8:9], v[113:114], -v[191:192]
	v_add_f64 v[10:11], v[117:118], -v[193:194]
	s_delay_alu instid0(VALU_DEP_4) | instskip(NEXT) | instid1(VALU_DEP_4)
	v_fma_f64 v[95:96], v[0:1], 2.0, -v[89:90]
	v_fma_f64 v[97:98], v[2:3], 2.0, -v[91:92]
	v_add_f64 v[0:1], v[212:213], -v[183:184]
	v_add_f64 v[2:3], v[214:215], -v[187:188]
	ds_store_b128 v4, v[95:98] offset:160
	ds_store_b128 v4, v[85:88] offset:320
	;; [unrolled: 1-line block ×3, first 2 shown]
	v_fma_f64 v[4:5], v[212:213], 2.0, -v[0:1]
	v_fma_f64 v[6:7], v[214:215], 2.0, -v[2:3]
	;; [unrolled: 1-line block ×4, first 2 shown]
	s_delay_alu instid0(VALU_DEP_2) | instskip(NEXT) | instid1(VALU_DEP_2)
	v_add_f64 v[85:86], v[4:5], -v[12:13]
	v_add_f64 v[87:88], v[6:7], -v[14:15]
	s_delay_alu instid0(VALU_DEP_2) | instskip(NEXT) | instid1(VALU_DEP_2)
	v_fma_f64 v[89:90], v[4:5], 2.0, -v[85:86]
	v_fma_f64 v[91:92], v[6:7], 2.0, -v[87:88]
	v_and_b32_e32 v4, 0xffff, v202
	s_delay_alu instid0(VALU_DEP_1) | instskip(NEXT) | instid1(VALU_DEP_1)
	v_mul_u32_u24_e32 v4, 40, v4
	v_add_nc_u32_e32 v4, v4, v203
	s_delay_alu instid0(VALU_DEP_1) | instskip(SKIP_4) | instid1(VALU_DEP_2)
	v_add_lshl_u32 v4, v254, v4, 4
	scratch_store_b32 off, v4, off offset:348 ; 4-byte Folded Spill
	ds_store_b128 v4, v[89:92]
	v_add_f64 v[89:90], v[0:1], -v[10:11]
	v_add_f64 v[91:92], v[2:3], v[8:9]
	v_fma_f64 v[95:96], v[0:1], 2.0, -v[89:90]
	s_delay_alu instid0(VALU_DEP_2)
	v_fma_f64 v[97:98], v[2:3], 2.0, -v[91:92]
	v_mad_u64_u32 v[0:1], null, v26, 48, s[10:11]
	ds_store_b128 v4, v[95:98] offset:160
	ds_store_b128 v4, v[85:88] offset:320
	;; [unrolled: 1-line block ×3, first 2 shown]
	s_waitcnt lgkmcnt(0)
	s_waitcnt_vscnt null, 0x0
	s_barrier
	buffer_gl0_inv
	s_clause 0x7
	global_load_b128 v[181:184], v[0:1], off offset:480
	global_load_b128 v[197:200], v[0:1], off offset:496
	;; [unrolled: 1-line block ×8, first 2 shown]
	ds_load_b128 v[85:88], v246 offset:1280
	scratch_store_b32 off, v26, off offset:336 ; 4-byte Folded Spill
	v_add_nc_u32_e32 v26, -8, v26
	s_clause 0x3
	global_load_b128 v[213:216], v[0:1], off offset:880
	global_load_b128 v[217:220], v[0:1], off offset:896
	;; [unrolled: 1-line block ×4, first 2 shown]
	v_cndmask_b32_e32 v64, v26, v93, vcc_lo
	s_delay_alu instid0(VALU_DEP_1) | instskip(SKIP_1) | instid1(VALU_DEP_2)
	v_mul_i32_i24_e32 v26, 48, v64
	v_mul_hi_i32_i24_e32 v27, 48, v64
	v_add_co_u32 v26, vcc_lo, s10, v26
	s_delay_alu instid0(VALU_DEP_2)
	v_add_co_ci_u32_e32 v27, vcc_lo, s11, v27, vcc_lo
	v_cmp_lt_u64_e32 vcc_lo, 39, v[93:94]
	s_clause 0x2
	global_load_b128 v[229:232], v[26:27], off offset:480
	global_load_b128 v[209:212], v[26:27], off offset:496
	;; [unrolled: 1-line block ×3, first 2 shown]
	s_waitcnt vmcnt(14) lgkmcnt(0)
	v_mul_f64 v[2:3], v[87:88], v[183:184]
	v_mul_f64 v[4:5], v[85:86], v[183:184]
	s_delay_alu instid0(VALU_DEP_2) | instskip(NEXT) | instid1(VALU_DEP_2)
	v_fma_f64 v[2:3], v[85:86], v[181:182], -v[2:3]
	v_fma_f64 v[4:5], v[87:88], v[181:182], v[4:5]
	ds_load_b128 v[85:88], v246 offset:2560
	s_waitcnt vmcnt(13) lgkmcnt(0)
	v_mul_f64 v[6:7], v[87:88], v[199:200]
	v_mul_f64 v[8:9], v[85:86], v[199:200]
	s_delay_alu instid0(VALU_DEP_2) | instskip(NEXT) | instid1(VALU_DEP_2)
	v_fma_f64 v[6:7], v[85:86], v[197:198], -v[6:7]
	v_fma_f64 v[8:9], v[87:88], v[197:198], v[8:9]
	ds_load_b128 v[85:88], v246 offset:3840
	;; [unrolled: 7-line block ×3, first 2 shown]
	s_waitcnt vmcnt(10) lgkmcnt(0)
	v_mul_f64 v[14:15], v[87:88], v[195:196]
	v_mul_f64 v[16:17], v[85:86], v[195:196]
	v_add_f64 v[10:11], v[2:3], -v[10:11]
	v_add_f64 v[12:13], v[4:5], -v[12:13]
	s_delay_alu instid0(VALU_DEP_4) | instskip(NEXT) | instid1(VALU_DEP_4)
	v_fma_f64 v[14:15], v[85:86], v[193:194], -v[14:15]
	v_fma_f64 v[16:17], v[87:88], v[193:194], v[16:17]
	ds_load_b128 v[85:88], v246 offset:2816
	v_fma_f64 v[2:3], v[2:3], 2.0, -v[10:11]
	v_fma_f64 v[4:5], v[4:5], 2.0, -v[12:13]
	s_waitcnt vmcnt(9) lgkmcnt(0)
	v_mul_f64 v[18:19], v[87:88], v[191:192]
	v_mul_f64 v[20:21], v[85:86], v[191:192]
	s_delay_alu instid0(VALU_DEP_2) | instskip(NEXT) | instid1(VALU_DEP_2)
	v_fma_f64 v[18:19], v[85:86], v[189:190], -v[18:19]
	v_fma_f64 v[20:21], v[87:88], v[189:190], v[20:21]
	ds_load_b128 v[85:88], v246 offset:4096
	s_waitcnt vmcnt(8) lgkmcnt(0)
	v_mul_f64 v[22:23], v[87:88], v[227:228]
	v_mul_f64 v[24:25], v[85:86], v[227:228]
	s_delay_alu instid0(VALU_DEP_2) | instskip(NEXT) | instid1(VALU_DEP_2)
	v_fma_f64 v[22:23], v[85:86], v[225:226], -v[22:23]
	v_fma_f64 v[24:25], v[87:88], v[225:226], v[24:25]
	ds_load_b128 v[85:88], v246 offset:1792
	s_waitcnt vmcnt(2) lgkmcnt(0)
	v_mul_f64 v[28:29], v[87:88], v[231:232]
	v_mul_f64 v[30:31], v[85:86], v[231:232]
	v_add_f64 v[22:23], v[14:15], -v[22:23]
	v_add_f64 v[24:25], v[16:17], -v[24:25]
	s_delay_alu instid0(VALU_DEP_4) | instskip(NEXT) | instid1(VALU_DEP_4)
	v_fma_f64 v[28:29], v[85:86], v[229:230], -v[28:29]
	v_fma_f64 v[30:31], v[87:88], v[229:230], v[30:31]
	ds_load_b128 v[85:88], v246 offset:3072
	s_waitcnt vmcnt(1) lgkmcnt(0)
	v_mul_f64 v[32:33], v[87:88], v[211:212]
	v_mul_f64 v[34:35], v[85:86], v[211:212]
	s_delay_alu instid0(VALU_DEP_2) | instskip(NEXT) | instid1(VALU_DEP_2)
	v_fma_f64 v[32:33], v[85:86], v[209:210], -v[32:33]
	v_fma_f64 v[34:35], v[87:88], v[209:210], v[34:35]
	ds_load_b128 v[85:88], v246 offset:4352
	s_waitcnt vmcnt(0) lgkmcnt(0)
	v_mul_f64 v[26:27], v[87:88], v[203:204]
	v_mul_f64 v[36:37], v[85:86], v[203:204]
	s_delay_alu instid0(VALU_DEP_2) | instskip(NEXT) | instid1(VALU_DEP_2)
	v_fma_f64 v[26:27], v[85:86], v[201:202], -v[26:27]
	v_fma_f64 v[36:37], v[87:88], v[201:202], v[36:37]
	ds_load_b128 v[85:88], v246 offset:2048
	s_waitcnt lgkmcnt(0)
	v_mul_f64 v[38:39], v[87:88], v[207:208]
	v_mul_f64 v[40:41], v[85:86], v[207:208]
	s_delay_alu instid0(VALU_DEP_2) | instskip(NEXT) | instid1(VALU_DEP_2)
	v_fma_f64 v[38:39], v[85:86], v[205:206], -v[38:39]
	v_fma_f64 v[40:41], v[87:88], v[205:206], v[40:41]
	ds_load_b128 v[85:88], v246 offset:3328
	s_waitcnt lgkmcnt(0)
	;; [unrolled: 7-line block ×6, first 2 shown]
	v_mul_f64 v[0:1], v[87:88], v[235:236]
	v_mul_f64 v[58:59], v[85:86], v[235:236]
	s_delay_alu instid0(VALU_DEP_2) | instskip(NEXT) | instid1(VALU_DEP_2)
	v_fma_f64 v[0:1], v[85:86], v[233:234], -v[0:1]
	v_fma_f64 v[58:59], v[87:88], v[233:234], v[58:59]
	ds_load_b128 v[85:88], v246
	ds_load_b128 v[95:98], v246 offset:256
	ds_load_b128 v[99:102], v246 offset:1024
	;; [unrolled: 1-line block ×4, first 2 shown]
	s_waitcnt lgkmcnt(0)
	s_waitcnt_vscnt null, 0x0
	s_barrier
	buffer_gl0_inv
	v_add_f64 v[6:7], v[85:86], -v[6:7]
	v_add_f64 v[8:9], v[87:88], -v[8:9]
	;; [unrolled: 1-line block ×3, first 2 shown]
	s_delay_alu instid0(VALU_DEP_3) | instskip(NEXT) | instid1(VALU_DEP_3)
	v_fma_f64 v[60:61], v[85:86], 2.0, -v[6:7]
	v_fma_f64 v[62:63], v[87:88], 2.0, -v[8:9]
	v_add_f64 v[85:86], v[6:7], -v[12:13]
	v_add_f64 v[87:88], v[8:9], v[10:11]
	v_add_f64 v[10:11], v[28:29], -v[26:27]
	v_add_f64 v[12:13], v[30:31], -v[36:37]
	s_delay_alu instid0(VALU_DEP_4) | instskip(NEXT) | instid1(VALU_DEP_4)
	v_fma_f64 v[89:90], v[6:7], 2.0, -v[85:86]
	v_fma_f64 v[91:92], v[8:9], 2.0, -v[87:88]
	v_add_f64 v[6:7], v[95:96], -v[18:19]
	v_add_f64 v[8:9], v[97:98], -v[20:21]
	ds_store_b128 v246, v[85:88] offset:1920
	v_add_f64 v[85:86], v[6:7], -v[24:25]
	v_add_f64 v[87:88], v[8:9], v[22:23]
	v_fma_f64 v[18:19], v[95:96], 2.0, -v[6:7]
	v_fma_f64 v[20:21], v[97:98], 2.0, -v[8:9]
	s_delay_alu instid0(VALU_DEP_4) | instskip(NEXT) | instid1(VALU_DEP_4)
	v_fma_f64 v[95:96], v[6:7], 2.0, -v[85:86]
	v_fma_f64 v[97:98], v[8:9], 2.0, -v[87:88]
	ds_store_b128 v246, v[85:88] offset:2176
	ds_store_b128 v246, v[89:92] offset:640
	;; [unrolled: 1-line block ×3, first 2 shown]
	v_add_f64 v[85:86], v[60:61], -v[2:3]
	v_add_f64 v[87:88], v[62:63], -v[4:5]
	v_fma_f64 v[2:3], v[14:15], 2.0, -v[22:23]
	v_fma_f64 v[4:5], v[16:17], 2.0, -v[24:25]
	;; [unrolled: 1-line block ×6, first 2 shown]
	ds_store_b128 v246, v[85:88] offset:1280
	v_add_f64 v[85:86], v[18:19], -v[2:3]
	v_add_f64 v[87:88], v[20:21], -v[4:5]
	;; [unrolled: 1-line block ×4, first 2 shown]
	s_delay_alu instid0(VALU_DEP_4) | instskip(NEXT) | instid1(VALU_DEP_4)
	v_fma_f64 v[95:96], v[18:19], 2.0, -v[85:86]
	v_fma_f64 v[97:98], v[20:21], 2.0, -v[87:88]
	s_delay_alu instid0(VALU_DEP_4) | instskip(NEXT) | instid1(VALU_DEP_4)
	v_fma_f64 v[6:7], v[103:104], 2.0, -v[2:3]
	v_fma_f64 v[8:9], v[105:106], 2.0, -v[4:5]
	ds_store_b128 v246, v[85:88] offset:1536
	ds_store_b128 v246, v[89:92]
	ds_store_b128 v246, v[95:98] offset:256
	v_add_f64 v[18:19], v[52:53], -v[58:59]
	v_fma_f64 v[20:21], v[50:51], 2.0, -v[0:1]
	v_add_f64 v[85:86], v[6:7], -v[14:15]
	v_add_f64 v[87:88], v[8:9], -v[16:17]
	s_delay_alu instid0(VALU_DEP_4) | instskip(NEXT) | instid1(VALU_DEP_3)
	v_fma_f64 v[22:23], v[52:53], 2.0, -v[18:19]
	v_fma_f64 v[89:90], v[6:7], 2.0, -v[85:86]
	s_delay_alu instid0(VALU_DEP_3) | instskip(SKIP_1) | instid1(VALU_DEP_1)
	v_fma_f64 v[91:92], v[8:9], 2.0, -v[87:88]
	v_cndmask_b32_e64 v6, 0, 0xa0, vcc_lo
	v_add_nc_u32_e32 v6, v6, v64
	s_delay_alu instid0(VALU_DEP_1)
	v_add_lshl_u32 v254, v254, v6, 4
	ds_store_b128 v254, v[89:92]
	v_add_f64 v[89:90], v[2:3], -v[12:13]
	v_add_f64 v[91:92], v[4:5], v[10:11]
	v_add_f64 v[10:11], v[38:39], -v[46:47]
	v_add_f64 v[12:13], v[40:41], -v[48:49]
	s_delay_alu instid0(VALU_DEP_4) | instskip(NEXT) | instid1(VALU_DEP_4)
	v_fma_f64 v[93:94], v[2:3], 2.0, -v[89:90]
	v_fma_f64 v[95:96], v[4:5], 2.0, -v[91:92]
	v_add_f64 v[2:3], v[107:108], -v[42:43]
	v_add_f64 v[4:5], v[109:110], -v[44:45]
	v_fma_f64 v[14:15], v[38:39], 2.0, -v[10:11]
	v_fma_f64 v[16:17], v[40:41], 2.0, -v[12:13]
	ds_store_b128 v254, v[93:96] offset:640
	ds_store_b128 v254, v[85:88] offset:1280
	;; [unrolled: 1-line block ×3, first 2 shown]
	v_fma_f64 v[6:7], v[107:108], 2.0, -v[2:3]
	v_fma_f64 v[8:9], v[109:110], 2.0, -v[4:5]
	s_delay_alu instid0(VALU_DEP_2) | instskip(NEXT) | instid1(VALU_DEP_2)
	v_add_f64 v[85:86], v[6:7], -v[14:15]
	v_add_f64 v[87:88], v[8:9], -v[16:17]
	s_delay_alu instid0(VALU_DEP_2) | instskip(NEXT) | instid1(VALU_DEP_2)
	v_fma_f64 v[89:90], v[6:7], 2.0, -v[85:86]
	v_fma_f64 v[91:92], v[8:9], 2.0, -v[87:88]
	v_add_f64 v[6:7], v[99:100], -v[54:55]
	v_add_f64 v[8:9], v[101:102], -v[56:57]
	ds_store_b128 v246, v[89:92] offset:2688
	v_fma_f64 v[14:15], v[99:100], 2.0, -v[6:7]
	v_fma_f64 v[16:17], v[101:102], 2.0, -v[8:9]
	s_delay_alu instid0(VALU_DEP_2) | instskip(NEXT) | instid1(VALU_DEP_2)
	v_add_f64 v[89:90], v[14:15], -v[20:21]
	v_add_f64 v[91:92], v[16:17], -v[22:23]
	s_delay_alu instid0(VALU_DEP_2) | instskip(NEXT) | instid1(VALU_DEP_2)
	v_fma_f64 v[93:94], v[14:15], 2.0, -v[89:90]
	v_fma_f64 v[95:96], v[16:17], 2.0, -v[91:92]
	ds_store_b128 v246, v[93:96] offset:2944
	v_add_f64 v[93:94], v[2:3], -v[12:13]
	v_add_f64 v[95:96], v[4:5], v[10:11]
	s_delay_alu instid0(VALU_DEP_2) | instskip(NEXT) | instid1(VALU_DEP_2)
	v_fma_f64 v[97:98], v[2:3], 2.0, -v[93:94]
	v_fma_f64 v[99:100], v[4:5], 2.0, -v[95:96]
	ds_store_b128 v246, v[97:100] offset:3328
	v_add_f64 v[97:98], v[6:7], -v[18:19]
	v_add_f64 v[99:100], v[8:9], v[0:1]
	s_delay_alu instid0(VALU_DEP_2) | instskip(NEXT) | instid1(VALU_DEP_2)
	v_fma_f64 v[101:102], v[6:7], 2.0, -v[97:98]
	v_fma_f64 v[103:104], v[8:9], 2.0, -v[99:100]
	ds_store_b128 v246, v[101:104] offset:3584
	ds_store_b128 v246, v[85:88] offset:3968
	;; [unrolled: 1-line block ×5, first 2 shown]
	s_waitcnt lgkmcnt(0)
	s_barrier
	buffer_gl0_inv
	global_load_b128 v[241:244], v247, s[10:11] offset:2400
	ds_load_b128 v[89:92], v246 offset:2560
	ds_load_b128 v[93:96], v246 offset:2816
	;; [unrolled: 1-line block ×9, first 2 shown]
	s_waitcnt vmcnt(0) lgkmcnt(8)
	v_mul_f64 v[0:1], v[91:92], v[243:244]
	s_delay_alu instid0(VALU_DEP_1) | instskip(SKIP_1) | instid1(VALU_DEP_1)
	v_fma_f64 v[4:5], v[89:90], v[241:242], -v[0:1]
	v_mul_f64 v[0:1], v[89:90], v[243:244]
	v_fma_f64 v[32:33], v[91:92], v[241:242], v[0:1]
	global_load_b128 v[89:92], v247, s[10:11] offset:2656
	s_waitcnt vmcnt(0) lgkmcnt(7)
	v_mul_f64 v[0:1], v[95:96], v[91:92]
	s_delay_alu instid0(VALU_DEP_1) | instskip(SKIP_1) | instid1(VALU_DEP_1)
	v_fma_f64 v[28:29], v[93:94], v[89:90], -v[0:1]
	v_mul_f64 v[0:1], v[93:94], v[91:92]
	v_fma_f64 v[26:27], v[95:96], v[89:90], v[0:1]
	global_load_b128 v[93:96], v247, s[10:11] offset:2912
	;; [unrolled: 7-line block ×6, first 2 shown]
	s_waitcnt vmcnt(0) lgkmcnt(2)
	v_mul_f64 v[0:1], v[115:116], v[111:112]
	s_delay_alu instid0(VALU_DEP_1) | instskip(SKIP_1) | instid1(VALU_DEP_1)
	v_fma_f64 v[48:49], v[113:114], v[109:110], -v[0:1]
	v_mul_f64 v[0:1], v[113:114], v[111:112]
	v_fma_f64 v[56:57], v[115:116], v[109:110], v[0:1]
	v_add_co_u32 v0, s6, s10, v247
	s_delay_alu instid0(VALU_DEP_1) | instskip(NEXT) | instid1(VALU_DEP_2)
	v_add_co_ci_u32_e64 v1, null, s11, 0, s6
	v_add_co_u32 v0, vcc_lo, 0x1000, v0
	s_delay_alu instid0(VALU_DEP_2) | instskip(SKIP_3) | instid1(VALU_DEP_1)
	v_add_co_ci_u32_e32 v1, vcc_lo, 0, v1, vcc_lo
	global_load_b128 v[113:116], v[0:1], off offset:96
	s_waitcnt vmcnt(0) lgkmcnt(1)
	v_mul_f64 v[2:3], v[119:120], v[115:116]
	v_fma_f64 v[14:15], v[117:118], v[113:114], -v[2:3]
	v_mul_f64 v[2:3], v[117:118], v[115:116]
	s_delay_alu instid0(VALU_DEP_1) | instskip(SKIP_3) | instid1(VALU_DEP_1)
	v_fma_f64 v[10:11], v[119:120], v[113:114], v[2:3]
	global_load_b128 v[117:120], v[0:1], off offset:352
	s_waitcnt vmcnt(0) lgkmcnt(0)
	v_mul_f64 v[2:3], v[123:124], v[119:120]
	v_fma_f64 v[8:9], v[121:122], v[117:118], -v[2:3]
	v_mul_f64 v[2:3], v[121:122], v[119:120]
	s_delay_alu instid0(VALU_DEP_1) | instskip(SKIP_4) | instid1(VALU_DEP_1)
	v_fma_f64 v[50:51], v[123:124], v[117:118], v[2:3]
	global_load_b128 v[121:124], v[0:1], off offset:608
	ds_load_b128 v[0:3], v246 offset:4864
	s_waitcnt vmcnt(0) lgkmcnt(0)
	v_mul_f64 v[30:31], v[2:3], v[123:124]
	v_fma_f64 v[6:7], v[0:1], v[121:122], -v[30:31]
	v_mul_f64 v[0:1], v[0:1], v[123:124]
	s_delay_alu instid0(VALU_DEP_1) | instskip(SKIP_4) | instid1(VALU_DEP_2)
	v_fma_f64 v[80:81], v[2:3], v[121:122], v[0:1]
	ds_load_b128 v[0:3], v246
	s_waitcnt lgkmcnt(0)
	v_add_f64 v[40:41], v[0:1], -v[4:5]
	v_add_f64 v[42:43], v[2:3], -v[32:33]
	v_fma_f64 v[76:77], v[0:1], 2.0, -v[40:41]
	s_delay_alu instid0(VALU_DEP_2) | instskip(SKIP_4) | instid1(VALU_DEP_2)
	v_fma_f64 v[78:79], v[2:3], 2.0, -v[42:43]
	ds_load_b128 v[0:3], v246 offset:256
	s_waitcnt lgkmcnt(0)
	v_add_f64 v[36:37], v[0:1], -v[28:29]
	v_add_f64 v[38:39], v[2:3], -v[26:27]
	v_fma_f64 v[72:73], v[0:1], 2.0, -v[36:37]
	s_delay_alu instid0(VALU_DEP_2) | instskip(SKIP_4) | instid1(VALU_DEP_2)
	v_fma_f64 v[74:75], v[2:3], 2.0, -v[38:39]
	ds_load_b128 v[0:3], v246 offset:512
	;; [unrolled: 7-line block ×9, first 2 shown]
	s_waitcnt lgkmcnt(0)
	v_add_f64 v[4:5], v[0:1], -v[6:7]
	v_add_f64 v[6:7], v[2:3], -v[80:81]
	v_fma_f64 v[0:1], v[0:1], 2.0, -v[4:5]
	s_delay_alu instid0(VALU_DEP_2)
	v_fma_f64 v[2:3], v[2:3], 2.0, -v[6:7]
	ds_store_b128 v246, v[76:79]
	ds_store_b128 v245, v[40:43] offset:2560
	ds_store_b128 v246, v[72:75] offset:256
	;; [unrolled: 1-line block ×19, first 2 shown]
	s_waitcnt lgkmcnt(0)
	s_barrier
	buffer_gl0_inv
	global_load_b128 v[0:3], v247, s[2:3]
	ds_load_b128 v[4:7], v246
	ds_load_b128 v[16:19], v246 offset:1024
	ds_load_b128 v[28:31], v246 offset:2048
	;; [unrolled: 1-line block ×4, first 2 shown]
	s_waitcnt vmcnt(0) lgkmcnt(4)
	v_mul_f64 v[8:9], v[6:7], v[2:3]
	v_mul_f64 v[10:11], v[4:5], v[2:3]
	s_delay_alu instid0(VALU_DEP_2) | instskip(NEXT) | instid1(VALU_DEP_2)
	v_fma_f64 v[2:3], v[4:5], v[0:1], -v[8:9]
	v_fma_f64 v[4:5], v[6:7], v[0:1], v[10:11]
	global_load_b128 v[6:9], v247, s[2:3] offset:512
	ds_load_b128 v[10:13], v246 offset:512
	s_waitcnt vmcnt(0) lgkmcnt(0)
	v_mul_f64 v[0:1], v[12:13], v[8:9]
	v_mul_f64 v[14:15], v[10:11], v[8:9]
	s_delay_alu instid0(VALU_DEP_2) | instskip(NEXT) | instid1(VALU_DEP_2)
	v_fma_f64 v[8:9], v[10:11], v[6:7], -v[0:1]
	v_fma_f64 v[10:11], v[12:13], v[6:7], v[14:15]
	global_load_b128 v[12:15], v247, s[2:3] offset:1024
	s_waitcnt vmcnt(0)
	v_mul_f64 v[0:1], v[18:19], v[14:15]
	v_mul_f64 v[6:7], v[16:17], v[14:15]
	s_delay_alu instid0(VALU_DEP_2) | instskip(NEXT) | instid1(VALU_DEP_2)
	v_fma_f64 v[14:15], v[16:17], v[12:13], -v[0:1]
	v_fma_f64 v[16:17], v[18:19], v[12:13], v[6:7]
	global_load_b128 v[18:21], v247, s[2:3] offset:1536
	s_waitcnt vmcnt(0)
	;; [unrolled: 7-line block ×4, first 2 shown]
	v_mul_f64 v[0:1], v[36:37], v[32:33]
	v_mul_f64 v[6:7], v[34:35], v[32:33]
	s_delay_alu instid0(VALU_DEP_2) | instskip(NEXT) | instid1(VALU_DEP_2)
	v_fma_f64 v[32:33], v[34:35], v[30:31], -v[0:1]
	v_fma_f64 v[34:35], v[36:37], v[30:31], v[6:7]
	ds_store_b128 v246, v[2:5]
	ds_store_b128 v246, v[8:11] offset:512
	ds_store_b128 v246, v[14:17] offset:1024
	;; [unrolled: 1-line block ×5, first 2 shown]
	global_load_b128 v[0:3], v247, s[2:3] offset:3072
	ds_load_b128 v[4:7], v245 offset:3072
	ds_load_b128 v[16:19], v245 offset:4096
	ds_load_b128 v[22:25], v245 offset:4608
	s_waitcnt vmcnt(0) lgkmcnt(2)
	v_mul_f64 v[8:9], v[6:7], v[2:3]
	v_mul_f64 v[10:11], v[4:5], v[2:3]
	s_delay_alu instid0(VALU_DEP_2) | instskip(NEXT) | instid1(VALU_DEP_2)
	v_fma_f64 v[2:3], v[4:5], v[0:1], -v[8:9]
	v_fma_f64 v[4:5], v[6:7], v[0:1], v[10:11]
	global_load_b128 v[6:9], v247, s[2:3] offset:3584
	ds_load_b128 v[10:13], v245 offset:3584
	s_waitcnt vmcnt(0) lgkmcnt(0)
	v_mul_f64 v[0:1], v[12:13], v[8:9]
	v_mul_f64 v[14:15], v[10:11], v[8:9]
	s_delay_alu instid0(VALU_DEP_2) | instskip(SKIP_1) | instid1(VALU_DEP_3)
	v_fma_f64 v[8:9], v[10:11], v[6:7], -v[0:1]
	v_or_b32_e32 v0, 0x1000, v247
	v_fma_f64 v[10:11], v[12:13], v[6:7], v[14:15]
	global_load_b128 v[12:15], v0, s[2:3]
	s_waitcnt vmcnt(0)
	v_mul_f64 v[0:1], v[18:19], v[14:15]
	v_mul_f64 v[6:7], v[16:17], v[14:15]
	s_delay_alu instid0(VALU_DEP_2) | instskip(SKIP_1) | instid1(VALU_DEP_3)
	v_fma_f64 v[14:15], v[16:17], v[12:13], -v[0:1]
	v_or_b32_e32 v0, 0x1200, v247
	v_fma_f64 v[16:17], v[18:19], v[12:13], v[6:7]
	global_load_b128 v[18:21], v0, s[2:3]
	s_waitcnt vmcnt(0)
	v_mul_f64 v[0:1], v[24:25], v[20:21]
	v_mul_f64 v[6:7], v[22:23], v[20:21]
	s_delay_alu instid0(VALU_DEP_2) | instskip(NEXT) | instid1(VALU_DEP_2)
	v_fma_f64 v[20:21], v[22:23], v[18:19], -v[0:1]
	v_fma_f64 v[22:23], v[24:25], v[18:19], v[6:7]
	ds_store_b128 v245, v[2:5] offset:3072
	ds_store_b128 v245, v[8:11] offset:3584
	;; [unrolled: 1-line block ×4, first 2 shown]
	global_load_b128 v[0:3], v247, s[2:3] offset:256
	ds_load_b128 v[4:7], v246 offset:256
	s_waitcnt vmcnt(0) lgkmcnt(0)
	v_mul_f64 v[8:9], v[6:7], v[2:3]
	v_mul_f64 v[10:11], v[4:5], v[2:3]
	s_delay_alu instid0(VALU_DEP_2) | instskip(NEXT) | instid1(VALU_DEP_2)
	v_fma_f64 v[2:3], v[4:5], v[0:1], -v[8:9]
	v_fma_f64 v[4:5], v[6:7], v[0:1], v[10:11]
	global_load_b128 v[6:9], v247, s[2:3] offset:768
	ds_load_b128 v[10:13], v246 offset:768
	s_waitcnt vmcnt(0) lgkmcnt(0)
	v_mul_f64 v[0:1], v[12:13], v[8:9]
	v_mul_f64 v[14:15], v[10:11], v[8:9]
	s_delay_alu instid0(VALU_DEP_2) | instskip(NEXT) | instid1(VALU_DEP_2)
	v_fma_f64 v[8:9], v[10:11], v[6:7], -v[0:1]
	v_fma_f64 v[10:11], v[12:13], v[6:7], v[14:15]
	ds_store_b128 v246, v[2:5] offset:256
	ds_store_b128 v246, v[8:11] offset:768
	global_load_b128 v[0:3], v247, s[2:3] offset:1280
	ds_load_b128 v[4:7], v245 offset:1280
	ds_load_b128 v[16:19], v245 offset:2304
	s_waitcnt vmcnt(0) lgkmcnt(1)
	v_mul_f64 v[8:9], v[6:7], v[2:3]
	v_mul_f64 v[10:11], v[4:5], v[2:3]
	s_delay_alu instid0(VALU_DEP_2) | instskip(NEXT) | instid1(VALU_DEP_2)
	v_fma_f64 v[2:3], v[4:5], v[0:1], -v[8:9]
	v_fma_f64 v[4:5], v[6:7], v[0:1], v[10:11]
	global_load_b128 v[6:9], v247, s[2:3] offset:1792
	ds_load_b128 v[10:13], v245 offset:1792
	s_waitcnt vmcnt(0) lgkmcnt(0)
	v_mul_f64 v[0:1], v[12:13], v[8:9]
	v_mul_f64 v[14:15], v[10:11], v[8:9]
	s_delay_alu instid0(VALU_DEP_2) | instskip(NEXT) | instid1(VALU_DEP_2)
	v_fma_f64 v[8:9], v[10:11], v[6:7], -v[0:1]
	v_fma_f64 v[10:11], v[12:13], v[6:7], v[14:15]
	global_load_b128 v[12:15], v247, s[2:3] offset:2304
	s_waitcnt vmcnt(0)
	v_mul_f64 v[0:1], v[18:19], v[14:15]
	v_mul_f64 v[6:7], v[16:17], v[14:15]
	s_delay_alu instid0(VALU_DEP_2) | instskip(NEXT) | instid1(VALU_DEP_2)
	v_fma_f64 v[14:15], v[16:17], v[12:13], -v[0:1]
	v_fma_f64 v[16:17], v[18:19], v[12:13], v[6:7]
	ds_store_b128 v245, v[2:5] offset:1280
	ds_store_b128 v245, v[8:11] offset:1792
	;; [unrolled: 1-line block ×3, first 2 shown]
	global_load_b128 v[0:3], v247, s[2:3] offset:2816
	ds_load_b128 v[4:7], v246 offset:2816
	s_waitcnt vmcnt(0) lgkmcnt(0)
	v_mul_f64 v[8:9], v[6:7], v[2:3]
	v_mul_f64 v[10:11], v[4:5], v[2:3]
	s_delay_alu instid0(VALU_DEP_2) | instskip(NEXT) | instid1(VALU_DEP_2)
	v_fma_f64 v[2:3], v[4:5], v[0:1], -v[8:9]
	v_fma_f64 v[4:5], v[6:7], v[0:1], v[10:11]
	ds_store_b128 v246, v[2:5] offset:2816
	global_load_b128 v[0:3], v247, s[2:3] offset:3328
	ds_load_b128 v[4:7], v245 offset:3328
	ds_load_b128 v[16:19], v245 offset:4352
	;; [unrolled: 1-line block ×3, first 2 shown]
	s_waitcnt vmcnt(0) lgkmcnt(2)
	v_mul_f64 v[8:9], v[6:7], v[2:3]
	v_mul_f64 v[10:11], v[4:5], v[2:3]
	s_delay_alu instid0(VALU_DEP_2) | instskip(NEXT) | instid1(VALU_DEP_2)
	v_fma_f64 v[2:3], v[4:5], v[0:1], -v[8:9]
	v_fma_f64 v[4:5], v[6:7], v[0:1], v[10:11]
	global_load_b128 v[6:9], v247, s[2:3] offset:3840
	ds_load_b128 v[10:13], v245 offset:3840
	s_waitcnt vmcnt(0) lgkmcnt(0)
	v_mul_f64 v[0:1], v[12:13], v[8:9]
	v_mul_f64 v[14:15], v[10:11], v[8:9]
	s_delay_alu instid0(VALU_DEP_2)
	v_fma_f64 v[8:9], v[10:11], v[6:7], -v[0:1]
	scratch_load_b32 v0, off, off offset:344 ; 4-byte Folded Reload
	v_fma_f64 v[10:11], v[12:13], v[6:7], v[14:15]
	s_waitcnt vmcnt(0)
	global_load_b128 v[12:15], v0, s[2:3]
	s_waitcnt vmcnt(0)
	v_mul_f64 v[0:1], v[18:19], v[14:15]
	v_mul_f64 v[6:7], v[16:17], v[14:15]
	s_delay_alu instid0(VALU_DEP_2)
	v_fma_f64 v[14:15], v[16:17], v[12:13], -v[0:1]
	scratch_load_b32 v0, off, off offset:340 ; 4-byte Folded Reload
	v_fma_f64 v[16:17], v[18:19], v[12:13], v[6:7]
	s_waitcnt vmcnt(0)
	global_load_b128 v[18:21], v0, s[2:3]
	s_lshl_b64 s[2:3], s[4:5], 9
	s_waitcnt vmcnt(0)
	v_mul_f64 v[0:1], v[24:25], v[20:21]
	v_mul_f64 v[6:7], v[22:23], v[20:21]
	s_delay_alu instid0(VALU_DEP_2) | instskip(NEXT) | instid1(VALU_DEP_2)
	v_fma_f64 v[20:21], v[22:23], v[18:19], -v[0:1]
	v_fma_f64 v[22:23], v[24:25], v[18:19], v[6:7]
	ds_store_b128 v245, v[2:5] offset:3328
	ds_store_b128 v245, v[8:11] offset:3840
	;; [unrolled: 1-line block ×4, first 2 shown]
	s_waitcnt lgkmcnt(0)
	s_barrier
	buffer_gl0_inv
	ds_load_b128 v[0:3], v246
	ds_load_b128 v[4:7], v246 offset:1024
	ds_load_b128 v[8:11], v246 offset:2048
	s_waitcnt lgkmcnt(1)
	v_add_f64 v[12:13], v[0:1], v[4:5]
	s_waitcnt lgkmcnt(0)
	v_add_f64 v[24:25], v[4:5], -v[8:9]
	v_add_f64 v[86:87], v[8:9], -v[4:5]
	v_add_f64 v[28:29], v[6:7], -v[10:11]
	v_add_f64 v[30:31], v[10:11], -v[6:7]
	v_add_f64 v[16:17], v[12:13], v[8:9]
	v_add_f64 v[12:13], v[2:3], v[6:7]
	s_delay_alu instid0(VALU_DEP_1)
	v_add_f64 v[18:19], v[12:13], v[10:11]
	ds_load_b128 v[12:15], v245 offset:3072
	s_waitcnt lgkmcnt(0)
	v_add_f64 v[22:23], v[8:9], v[12:13]
	v_add_f64 v[32:33], v[10:11], -v[14:15]
	v_add_f64 v[26:27], v[10:11], v[14:15]
	v_add_f64 v[34:35], v[8:9], -v[12:13]
	ds_load_b128 v[8:11], v245 offset:4096
	s_waitcnt lgkmcnt(0)
	v_add_f64 v[36:37], v[6:7], -v[10:11]
	v_add_f64 v[38:39], v[4:5], v[8:9]
	v_add_f64 v[40:41], v[4:5], -v[8:9]
	v_add_f64 v[42:43], v[6:7], v[10:11]
	v_add_f64 v[4:5], v[16:17], v[12:13]
	;; [unrolled: 1-line block ×3, first 2 shown]
	v_add_f64 v[44:45], v[8:9], -v[12:13]
	v_add_f64 v[46:47], v[12:13], -v[8:9]
	;; [unrolled: 1-line block ×4, first 2 shown]
	v_fma_f64 v[38:39], v[38:39], -0.5, v[0:1]
	v_add_f64 v[52:53], v[4:5], v[8:9]
	v_add_f64 v[54:55], v[6:7], v[10:11]
	ds_load_b128 v[4:7], v246 offset:1536
	ds_load_b128 v[8:11], v246 offset:512
	;; [unrolled: 1-line block ×3, first 2 shown]
	v_add_f64 v[44:45], v[24:25], v[44:45]
	v_add_f64 v[24:25], v[86:87], v[46:47]
	;; [unrolled: 1-line block ×4, first 2 shown]
	s_waitcnt lgkmcnt(1)
	v_add_f64 v[16:17], v[8:9], v[4:5]
	s_waitcnt lgkmcnt(0)
	v_add_f64 v[64:65], v[4:5], -v[12:13]
	v_add_f64 v[66:67], v[12:13], -v[4:5]
	;; [unrolled: 1-line block ×4, first 2 shown]
	v_add_f64 v[56:57], v[16:17], v[12:13]
	v_add_f64 v[16:17], v[10:11], v[6:7]
	s_delay_alu instid0(VALU_DEP_1)
	v_add_f64 v[58:59], v[16:17], v[14:15]
	ds_load_b128 v[16:19], v245 offset:3584
	s_waitcnt lgkmcnt(0)
	v_add_f64 v[60:61], v[12:13], v[16:17]
	v_add_f64 v[62:63], v[14:15], -v[18:19]
	v_add_f64 v[68:69], v[14:15], v[18:19]
	v_add_f64 v[70:71], v[12:13], -v[16:17]
	ds_load_b128 v[12:15], v245 offset:4608
	s_waitcnt lgkmcnt(0)
	v_add_f64 v[76:77], v[6:7], -v[14:15]
	v_add_f64 v[78:79], v[4:5], v[12:13]
	v_add_f64 v[80:81], v[4:5], -v[12:13]
	v_add_f64 v[4:5], v[6:7], v[14:15]
	v_add_f64 v[6:7], v[56:57], v[16:17]
	;; [unrolled: 1-line block ×3, first 2 shown]
	v_add_f64 v[58:59], v[12:13], -v[16:17]
	v_add_f64 v[20:21], v[16:17], -v[12:13]
	v_add_f64 v[16:17], v[14:15], -v[18:19]
	v_add_f64 v[18:19], v[18:19], -v[14:15]
	v_fma_f64 v[60:61], v[60:61], -0.5, v[8:9]
	v_add_f64 v[6:7], v[6:7], v[12:13]
	v_add_f64 v[12:13], v[56:57], v[14:15]
	v_fma_f64 v[56:57], v[22:23], -0.5, v[0:1]
	v_fma_f64 v[0:1], v[26:27], -0.5, v[2:3]
	;; [unrolled: 1-line block ×6, first 2 shown]
	v_add_f64 v[46:47], v[74:75], v[18:19]
	v_add_f64 v[30:31], v[66:67], v[20:21]
	v_fma_f64 v[10:11], v[76:77], s[18:19], v[60:61]
	v_add_f64 v[82:83], v[52:53], v[6:7]
	v_add_f64 v[84:85], v[54:55], v[12:13]
	v_add_f64 v[4:5], v[52:53], -v[6:7]
	v_add_f64 v[6:7], v[54:55], -v[12:13]
	v_add_f64 v[54:55], v[72:73], v[16:17]
	v_fma_f64 v[8:9], v[80:81], s[16:17], v[42:43]
	v_add_f64 v[52:53], v[64:65], v[58:59]
	v_fma_f64 v[18:19], v[62:63], s[16:17], v[26:27]
	v_fma_f64 v[26:27], v[62:63], s[18:19], v[26:27]
	;; [unrolled: 1-line block ×4, first 2 shown]
	s_delay_alu instid0(VALU_DEP_4) | instskip(NEXT) | instid1(VALU_DEP_4)
	v_fma_f64 v[18:19], v[76:77], s[12:13], v[18:19]
	v_fma_f64 v[26:27], v[76:77], s[8:9], v[26:27]
	s_delay_alu instid0(VALU_DEP_4) | instskip(NEXT) | instid1(VALU_DEP_4)
	v_fma_f64 v[10:11], v[52:53], s[14:15], v[10:11]
	v_fma_f64 v[8:9], v[54:55], s[14:15], v[8:9]
	;; [unrolled: 3-line block ×3, first 2 shown]
	s_delay_alu instid0(VALU_DEP_3) | instskip(NEXT) | instid1(VALU_DEP_1)
	v_mul_f64 v[12:13], v[8:9], s[12:13]
	v_fma_f64 v[12:13], v[10:11], s[20:21], v[12:13]
	v_mul_f64 v[10:11], v[10:11], s[8:9]
	s_delay_alu instid0(VALU_DEP_1) | instskip(SKIP_3) | instid1(VALU_DEP_3)
	v_fma_f64 v[14:15], v[8:9], s[20:21], v[10:11]
	v_fma_f64 v[8:9], v[36:37], s[18:19], v[56:57]
	;; [unrolled: 1-line block ×5, first 2 shown]
	s_delay_alu instid0(VALU_DEP_3) | instskip(NEXT) | instid1(VALU_DEP_3)
	v_fma_f64 v[10:11], v[34:35], s[8:9], v[10:11]
	v_fma_f64 v[0:1], v[34:35], s[12:13], v[0:1]
	s_delay_alu instid0(VALU_DEP_3) | instskip(NEXT) | instid1(VALU_DEP_3)
	v_fma_f64 v[16:17], v[44:45], s[14:15], v[8:9]
	v_fma_f64 v[22:23], v[48:49], s[14:15], v[10:11]
	s_delay_alu instid0(VALU_DEP_3) | instskip(NEXT) | instid1(VALU_DEP_3)
	v_fma_f64 v[0:1], v[48:49], s[14:15], v[0:1]
	v_add_f64 v[8:9], v[16:17], v[12:13]
	v_add_f64 v[12:13], v[16:17], -v[12:13]
	v_fma_f64 v[16:17], v[70:71], s[18:19], v[68:69]
	v_add_f64 v[10:11], v[22:23], v[14:15]
	v_add_f64 v[14:15], v[22:23], -v[14:15]
	s_delay_alu instid0(VALU_DEP_3) | instskip(NEXT) | instid1(VALU_DEP_1)
	v_fma_f64 v[16:17], v[80:81], s[8:9], v[16:17]
	v_fma_f64 v[16:17], v[46:47], s[14:15], v[16:17]
	s_delay_alu instid0(VALU_DEP_1) | instskip(SKIP_1) | instid1(VALU_DEP_2)
	v_mul_f64 v[20:21], v[16:17], s[18:19]
	v_mul_f64 v[16:17], v[16:17], s[14:15]
	v_fma_f64 v[20:21], v[18:19], s[14:15], v[20:21]
	s_delay_alu instid0(VALU_DEP_2) | instskip(SKIP_4) | instid1(VALU_DEP_4)
	v_fma_f64 v[22:23], v[18:19], s[16:17], v[16:17]
	v_fma_f64 v[16:17], v[32:33], s[16:17], v[38:39]
	;; [unrolled: 1-line block ×6, first 2 shown]
	s_delay_alu instid0(VALU_DEP_4) | instskip(NEXT) | instid1(VALU_DEP_4)
	v_fma_f64 v[38:39], v[36:37], s[8:9], v[38:39]
	v_fma_f64 v[18:19], v[40:41], s[8:9], v[18:19]
	s_delay_alu instid0(VALU_DEP_4)
	v_fma_f64 v[2:3], v[40:41], s[12:13], v[2:3]
	v_fma_f64 v[36:37], v[36:37], s[16:17], v[56:57]
	;; [unrolled: 1-line block ×8, first 2 shown]
	v_add_f64 v[16:17], v[50:51], v[20:21]
	v_add_f64 v[20:21], v[50:51], -v[20:21]
	v_fma_f64 v[24:25], v[80:81], s[12:13], v[24:25]
	v_add_f64 v[18:19], v[58:59], v[22:23]
	v_add_f64 v[22:23], v[58:59], -v[22:23]
	v_fma_f64 v[36:37], v[44:45], s[14:15], v[32:33]
	s_delay_alu instid0(VALU_DEP_4) | instskip(NEXT) | instid1(VALU_DEP_1)
	v_fma_f64 v[24:25], v[46:47], s[14:15], v[24:25]
	v_mul_f64 v[28:29], v[24:25], s[18:19]
	v_mul_f64 v[24:25], v[24:25], s[22:23]
	s_delay_alu instid0(VALU_DEP_2) | instskip(NEXT) | instid1(VALU_DEP_2)
	v_fma_f64 v[28:29], v[26:27], s[22:23], v[28:29]
	v_fma_f64 v[30:31], v[26:27], s[16:17], v[24:25]
	s_delay_alu instid0(VALU_DEP_2) | instskip(NEXT) | instid1(VALU_DEP_2)
	v_add_f64 v[24:25], v[38:39], v[28:29]
	v_add_f64 v[26:27], v[2:3], v[30:31]
	v_add_f64 v[30:31], v[2:3], -v[30:31]
	v_fma_f64 v[2:3], v[80:81], s[18:19], v[42:43]
	v_add_f64 v[28:29], v[38:39], -v[28:29]
	v_fma_f64 v[38:39], v[76:77], s[16:17], v[60:61]
	s_delay_alu instid0(VALU_DEP_3) | instskip(NEXT) | instid1(VALU_DEP_2)
	v_fma_f64 v[2:3], v[70:71], s[12:13], v[2:3]
	v_fma_f64 v[34:35], v[62:63], s[8:9], v[38:39]
	s_delay_alu instid0(VALU_DEP_2) | instskip(NEXT) | instid1(VALU_DEP_2)
	v_fma_f64 v[2:3], v[54:55], s[14:15], v[2:3]
	v_fma_f64 v[32:33], v[52:53], s[14:15], v[34:35]
	ds_load_b128 v[40:43], v246 offset:256
	ds_load_b128 v[44:47], v245 offset:3328
	;; [unrolled: 1-line block ×10, first 2 shown]
	s_waitcnt lgkmcnt(0)
	s_barrier
	buffer_gl0_inv
	v_add_f64 v[80:81], v[64:65], -v[60:61]
	v_mul_f64 v[34:35], v[2:3], s[12:13]
	v_mul_f64 v[2:3], v[2:3], s[24:25]
	s_delay_alu instid0(VALU_DEP_2) | instskip(NEXT) | instid1(VALU_DEP_2)
	v_fma_f64 v[38:39], v[32:33], s[24:25], v[34:35]
	v_fma_f64 v[2:3], v[32:33], s[8:9], v[2:3]
	s_delay_alu instid0(VALU_DEP_2) | instskip(NEXT) | instid1(VALU_DEP_2)
	v_add_f64 v[32:33], v[36:37], v[38:39]
	v_add_f64 v[34:35], v[0:1], v[2:3]
	v_add_f64 v[36:37], v[36:37], -v[38:39]
	v_add_f64 v[38:39], v[0:1], -v[2:3]
	v_add_f64 v[0:1], v[40:41], v[52:53]
	v_add_f64 v[2:3], v[42:43], v[54:55]
	ds_store_b128 v253, v[82:85]
	ds_store_b128 v253, v[4:7] offset:80
	ds_store_b128 v253, v[8:11] offset:16
	;; [unrolled: 1-line block ×9, first 2 shown]
	v_add_f64 v[8:9], v[52:53], -v[72:73]
	v_add_f64 v[16:17], v[72:73], -v[52:53]
	v_add_f64 v[12:13], v[52:53], v[48:49]
	v_add_f64 v[38:39], v[52:53], -v[48:49]
	v_add_f64 v[52:53], v[78:79], v[62:63]
	v_add_f64 v[4:5], v[72:73], v[44:45]
	v_add_f64 v[32:33], v[74:75], -v[46:47]
	v_add_f64 v[0:1], v[0:1], v[72:73]
	v_add_f64 v[2:3], v[2:3], v[74:75]
	;; [unrolled: 1-line block ×3, first 2 shown]
	v_add_f64 v[34:35], v[72:73], -v[44:45]
	v_add_f64 v[10:11], v[54:55], -v[74:75]
	;; [unrolled: 1-line block ×4, first 2 shown]
	v_add_f64 v[14:15], v[54:55], v[50:51]
	v_add_f64 v[20:21], v[48:49], -v[44:45]
	v_add_f64 v[22:23], v[44:45], -v[48:49]
	;; [unrolled: 1-line block ×8, first 2 shown]
	v_fma_f64 v[52:53], v[52:53], -0.5, v[58:59]
	v_fma_f64 v[84:85], v[4:5], -0.5, v[40:41]
	;; [unrolled: 1-line block ×3, first 2 shown]
	v_add_f64 v[0:1], v[0:1], v[44:45]
	v_add_f64 v[2:3], v[2:3], v[46:47]
	;; [unrolled: 1-line block ×3, first 2 shown]
	v_add_f64 v[46:47], v[78:79], -v[62:63]
	v_fma_f64 v[86:87], v[6:7], -0.5, v[42:43]
	v_fma_f64 v[42:43], v[14:15], -0.5, v[42:43]
	v_add_f64 v[26:27], v[18:19], v[26:27]
	v_add_f64 v[28:29], v[0:1], v[48:49]
	;; [unrolled: 1-line block ×5, first 2 shown]
	v_add_f64 v[48:49], v[68:69], -v[76:77]
	v_add_f64 v[50:51], v[76:77], -v[68:69]
	v_fma_f64 v[44:45], v[44:45], -0.5, v[56:57]
	v_add_f64 v[0:1], v[0:1], v[76:77]
	v_add_f64 v[76:77], v[70:71], -v[66:67]
	v_add_f64 v[2:3], v[2:3], v[78:79]
	v_add_f64 v[78:79], v[68:69], v[64:65]
	v_add_f64 v[68:69], v[68:69], -v[64:65]
	v_add_f64 v[70:71], v[70:71], v[66:67]
	v_add_f64 v[48:49], v[48:49], v[80:81]
	;; [unrolled: 1-line block ×3, first 2 shown]
	v_add_f64 v[60:61], v[60:61], -v[64:65]
	v_add_f64 v[2:3], v[2:3], v[62:63]
	v_add_f64 v[62:63], v[62:63], -v[66:67]
	v_fma_f64 v[56:57], v[78:79], -0.5, v[56:57]
	v_fma_f64 v[58:59], v[70:71], -0.5, v[58:59]
	v_add_f64 v[70:71], v[72:73], v[82:83]
	v_add_f64 v[64:65], v[0:1], v[64:65]
	;; [unrolled: 1-line block ×3, first 2 shown]
	v_fma_f64 v[18:19], v[46:47], s[16:17], v[56:57]
	s_delay_alu instid0(VALU_DEP_3)
	v_add_f64 v[0:1], v[28:29], v[64:65]
	v_add_f64 v[4:5], v[28:29], -v[64:65]
	v_add_f64 v[64:65], v[8:9], v[20:21]
	v_fma_f64 v[8:9], v[68:69], s[16:17], v[52:53]
	v_add_f64 v[2:3], v[30:31], v[66:67]
	v_add_f64 v[6:7], v[30:31], -v[66:67]
	v_add_f64 v[66:67], v[10:11], v[24:25]
	v_fma_f64 v[10:11], v[76:77], s[18:19], v[44:45]
	v_add_f64 v[30:31], v[74:75], v[62:63]
	v_add_f64 v[28:29], v[50:51], v[60:61]
	v_fma_f64 v[18:19], v[76:77], s[12:13], v[18:19]
	v_fma_f64 v[8:9], v[54:55], s[8:9], v[8:9]
	;; [unrolled: 1-line block ×3, first 2 shown]
	s_delay_alu instid0(VALU_DEP_3) | instskip(NEXT) | instid1(VALU_DEP_3)
	v_fma_f64 v[18:19], v[28:29], s[14:15], v[18:19]
	v_fma_f64 v[8:9], v[70:71], s[14:15], v[8:9]
	s_delay_alu instid0(VALU_DEP_3) | instskip(NEXT) | instid1(VALU_DEP_2)
	v_fma_f64 v[10:11], v[48:49], s[14:15], v[10:11]
	v_mul_f64 v[12:13], v[8:9], s[12:13]
	s_delay_alu instid0(VALU_DEP_1) | instskip(SKIP_1) | instid1(VALU_DEP_1)
	v_fma_f64 v[12:13], v[10:11], s[20:21], v[12:13]
	v_mul_f64 v[10:11], v[10:11], s[8:9]
	v_fma_f64 v[14:15], v[8:9], s[20:21], v[10:11]
	v_fma_f64 v[10:11], v[38:39], s[16:17], v[86:87]
	;; [unrolled: 1-line block ×3, first 2 shown]
	s_delay_alu instid0(VALU_DEP_2) | instskip(NEXT) | instid1(VALU_DEP_2)
	v_fma_f64 v[10:11], v[34:35], s[8:9], v[10:11]
	v_fma_f64 v[8:9], v[32:33], s[12:13], v[8:9]
	s_delay_alu instid0(VALU_DEP_2) | instskip(NEXT) | instid1(VALU_DEP_2)
	v_fma_f64 v[24:25], v[66:67], s[14:15], v[10:11]
	v_fma_f64 v[20:21], v[64:65], s[14:15], v[8:9]
	s_delay_alu instid0(VALU_DEP_2)
	v_add_f64 v[10:11], v[24:25], v[14:15]
	v_add_f64 v[14:15], v[24:25], -v[14:15]
	v_add_f64 v[24:25], v[16:17], v[22:23]
	v_fma_f64 v[16:17], v[54:55], s[18:19], v[58:59]
	v_add_f64 v[8:9], v[20:21], v[12:13]
	v_add_f64 v[12:13], v[20:21], -v[12:13]
	s_delay_alu instid0(VALU_DEP_3) | instskip(NEXT) | instid1(VALU_DEP_1)
	v_fma_f64 v[16:17], v[68:69], s[8:9], v[16:17]
	v_fma_f64 v[16:17], v[30:31], s[14:15], v[16:17]
	s_delay_alu instid0(VALU_DEP_1) | instskip(SKIP_1) | instid1(VALU_DEP_2)
	v_mul_f64 v[20:21], v[16:17], s[18:19]
	v_mul_f64 v[16:17], v[16:17], s[14:15]
	v_fma_f64 v[20:21], v[18:19], s[14:15], v[20:21]
	s_delay_alu instid0(VALU_DEP_2) | instskip(SKIP_3) | instid1(VALU_DEP_3)
	v_fma_f64 v[22:23], v[18:19], s[16:17], v[16:17]
	v_fma_f64 v[16:17], v[32:33], s[16:17], v[40:41]
	;; [unrolled: 1-line block ×5, first 2 shown]
	s_delay_alu instid0(VALU_DEP_3) | instskip(NEXT) | instid1(VALU_DEP_3)
	v_fma_f64 v[40:41], v[36:37], s[8:9], v[40:41]
	v_fma_f64 v[18:19], v[38:39], s[8:9], v[18:19]
	v_fma_f64 v[36:37], v[36:37], s[16:17], v[84:85]
	s_delay_alu instid0(VALU_DEP_4) | instskip(NEXT) | instid1(VALU_DEP_4)
	v_fma_f64 v[50:51], v[24:25], s[14:15], v[16:17]
	v_fma_f64 v[40:41], v[24:25], s[14:15], v[40:41]
	;; [unrolled: 1-line block ×5, first 2 shown]
	v_add_f64 v[16:17], v[50:51], v[20:21]
	v_add_f64 v[20:21], v[50:51], -v[20:21]
	v_fma_f64 v[24:25], v[38:39], s[12:13], v[24:25]
	v_fma_f64 v[38:39], v[38:39], s[18:19], v[86:87]
	v_add_f64 v[18:19], v[60:61], v[22:23]
	v_add_f64 v[22:23], v[60:61], -v[22:23]
	s_delay_alu instid0(VALU_DEP_4) | instskip(SKIP_3) | instid1(VALU_DEP_3)
	v_fma_f64 v[42:43], v[26:27], s[14:15], v[24:25]
	v_fma_f64 v[24:25], v[54:55], s[16:17], v[58:59]
	v_fma_f64 v[26:27], v[46:47], s[18:19], v[56:57]
	v_fma_f64 v[34:35], v[34:35], s[12:13], v[38:39]
	v_fma_f64 v[24:25], v[68:69], s[12:13], v[24:25]
	s_delay_alu instid0(VALU_DEP_3) | instskip(NEXT) | instid1(VALU_DEP_2)
	v_fma_f64 v[26:27], v[76:77], s[8:9], v[26:27]
	v_fma_f64 v[24:25], v[30:31], s[14:15], v[24:25]
	s_delay_alu instid0(VALU_DEP_2) | instskip(NEXT) | instid1(VALU_DEP_2)
	v_fma_f64 v[26:27], v[28:29], s[14:15], v[26:27]
	v_mul_f64 v[28:29], v[24:25], s[18:19]
	v_mul_f64 v[24:25], v[24:25], s[22:23]
	s_delay_alu instid0(VALU_DEP_2) | instskip(NEXT) | instid1(VALU_DEP_2)
	v_fma_f64 v[28:29], v[26:27], s[22:23], v[28:29]
	v_fma_f64 v[30:31], v[26:27], s[16:17], v[24:25]
	s_delay_alu instid0(VALU_DEP_2) | instskip(SKIP_2) | instid1(VALU_DEP_4)
	v_add_f64 v[24:25], v[40:41], v[28:29]
	v_add_f64 v[28:29], v[40:41], -v[28:29]
	v_fma_f64 v[40:41], v[68:69], s[18:19], v[52:53]
	v_add_f64 v[26:27], v[42:43], v[30:31]
	v_add_f64 v[30:31], v[42:43], -v[30:31]
	v_fma_f64 v[42:43], v[76:77], s[16:17], v[44:45]
	s_delay_alu instid0(VALU_DEP_4) | instskip(NEXT) | instid1(VALU_DEP_2)
	v_fma_f64 v[40:41], v[54:55], s[12:13], v[40:41]
	v_fma_f64 v[36:37], v[46:47], s[8:9], v[42:43]
	;; [unrolled: 1-line block ×3, first 2 shown]
	s_delay_alu instid0(VALU_DEP_3) | instskip(SKIP_1) | instid1(VALU_DEP_4)
	v_fma_f64 v[38:39], v[70:71], s[14:15], v[40:41]
	v_fma_f64 v[40:41], v[64:65], s[14:15], v[32:33]
	;; [unrolled: 1-line block ×3, first 2 shown]
	s_delay_alu instid0(VALU_DEP_3) | instskip(SKIP_1) | instid1(VALU_DEP_2)
	v_mul_f64 v[34:35], v[38:39], s[12:13]
	v_mul_f64 v[36:37], v[38:39], s[24:25]
	v_fma_f64 v[38:39], v[32:33], s[24:25], v[34:35]
	s_delay_alu instid0(VALU_DEP_2) | instskip(NEXT) | instid1(VALU_DEP_2)
	v_fma_f64 v[44:45], v[32:33], s[8:9], v[36:37]
	v_add_f64 v[32:33], v[40:41], v[38:39]
	s_delay_alu instid0(VALU_DEP_2)
	v_add_f64 v[34:35], v[42:43], v[44:45]
	v_add_f64 v[36:37], v[40:41], -v[38:39]
	v_add_f64 v[38:39], v[42:43], -v[44:45]
	ds_store_b128 v252, v[0:3]
	ds_store_b128 v252, v[8:11] offset:16
	ds_store_b128 v252, v[16:19] offset:32
	;; [unrolled: 1-line block ×9, first 2 shown]
	s_waitcnt lgkmcnt(0)
	s_barrier
	buffer_gl0_inv
	ds_load_b128 v[0:3], v246 offset:1280
	s_waitcnt lgkmcnt(0)
	v_mul_f64 v[4:5], v[250:251], v[2:3]
	s_delay_alu instid0(VALU_DEP_1) | instskip(SKIP_1) | instid1(VALU_DEP_1)
	v_fma_f64 v[24:25], v[248:249], v[0:1], v[4:5]
	v_mul_f64 v[0:1], v[250:251], v[0:1]
	v_fma_f64 v[26:27], v[248:249], v[2:3], -v[0:1]
	ds_load_b128 v[0:3], v246 offset:2560
	s_waitcnt lgkmcnt(0)
	v_mul_f64 v[4:5], v[127:128], v[2:3]
	s_delay_alu instid0(VALU_DEP_1) | instskip(SKIP_1) | instid1(VALU_DEP_1)
	v_fma_f64 v[4:5], v[125:126], v[0:1], v[4:5]
	v_mul_f64 v[0:1], v[127:128], v[0:1]
	v_fma_f64 v[6:7], v[125:126], v[2:3], -v[0:1]
	ds_load_b128 v[0:3], v246 offset:3840
	s_waitcnt lgkmcnt(0)
	v_mul_f64 v[8:9], v[131:132], v[2:3]
	s_delay_alu instid0(VALU_DEP_1) | instskip(SKIP_1) | instid1(VALU_DEP_2)
	v_fma_f64 v[8:9], v[129:130], v[0:1], v[8:9]
	v_mul_f64 v[0:1], v[131:132], v[0:1]
	v_add_f64 v[82:83], v[24:25], -v[8:9]
	s_delay_alu instid0(VALU_DEP_2) | instskip(SKIP_4) | instid1(VALU_DEP_2)
	v_fma_f64 v[10:11], v[129:130], v[2:3], -v[0:1]
	ds_load_b128 v[0:3], v246 offset:1536
	s_waitcnt lgkmcnt(0)
	v_mul_f64 v[12:13], v[135:136], v[2:3]
	v_add_f64 v[80:81], v[26:27], -v[10:11]
	v_fma_f64 v[28:29], v[133:134], v[0:1], v[12:13]
	v_mul_f64 v[0:1], v[135:136], v[0:1]
	s_delay_alu instid0(VALU_DEP_1) | instskip(SKIP_3) | instid1(VALU_DEP_1)
	v_fma_f64 v[30:31], v[133:134], v[2:3], -v[0:1]
	ds_load_b128 v[0:3], v246 offset:2816
	s_waitcnt lgkmcnt(0)
	v_mul_f64 v[12:13], v[139:140], v[2:3]
	v_fma_f64 v[32:33], v[137:138], v[0:1], v[12:13]
	v_mul_f64 v[0:1], v[139:140], v[0:1]
	s_delay_alu instid0(VALU_DEP_1) | instskip(SKIP_3) | instid1(VALU_DEP_1)
	v_fma_f64 v[34:35], v[137:138], v[2:3], -v[0:1]
	ds_load_b128 v[0:3], v246 offset:4096
	s_waitcnt lgkmcnt(0)
	v_mul_f64 v[12:13], v[143:144], v[2:3]
	;; [unrolled: 7-line block ×11, first 2 shown]
	v_fma_f64 v[72:73], v[177:178], v[0:1], v[12:13]
	v_mul_f64 v[0:1], v[179:180], v[0:1]
	s_delay_alu instid0(VALU_DEP_1)
	v_fma_f64 v[74:75], v[177:178], v[2:3], -v[0:1]
	ds_load_b128 v[0:3], v246
	ds_load_b128 v[8:11], v246 offset:1024
	ds_load_b128 v[12:15], v246 offset:256
	;; [unrolled: 1-line block ×4, first 2 shown]
	s_waitcnt lgkmcnt(0)
	s_barrier
	buffer_gl0_inv
	scratch_load_b32 v84, off, off offset:360 ; 4-byte Folded Reload
	v_add_f64 v[4:5], v[0:1], -v[4:5]
	v_add_f64 v[6:7], v[2:3], -v[6:7]
	s_delay_alu instid0(VALU_DEP_2) | instskip(NEXT) | instid1(VALU_DEP_2)
	v_fma_f64 v[76:77], v[0:1], 2.0, -v[4:5]
	v_fma_f64 v[78:79], v[2:3], 2.0, -v[6:7]
	v_add_f64 v[0:1], v[4:5], v[80:81]
	v_add_f64 v[2:3], v[6:7], -v[82:83]
	s_delay_alu instid0(VALU_DEP_2) | instskip(NEXT) | instid1(VALU_DEP_2)
	v_fma_f64 v[4:5], v[4:5], 2.0, -v[0:1]
	v_fma_f64 v[6:7], v[6:7], 2.0, -v[2:3]
	s_waitcnt vmcnt(0)
	ds_store_b128 v84, v[0:3] offset:480
	v_fma_f64 v[0:1], v[24:25], 2.0, -v[82:83]
	v_fma_f64 v[2:3], v[26:27], 2.0, -v[80:81]
	s_delay_alu instid0(VALU_DEP_2) | instskip(NEXT) | instid1(VALU_DEP_2)
	v_add_f64 v[0:1], v[76:77], -v[0:1]
	v_add_f64 v[2:3], v[78:79], -v[2:3]
	s_delay_alu instid0(VALU_DEP_2) | instskip(NEXT) | instid1(VALU_DEP_2)
	v_fma_f64 v[24:25], v[76:77], 2.0, -v[0:1]
	v_fma_f64 v[26:27], v[78:79], 2.0, -v[2:3]
	ds_store_b128 v84, v[0:3] offset:320
	ds_store_b128 v84, v[4:7] offset:160
	ds_store_b128 v84, v[24:27]
	v_add_f64 v[24:25], v[12:13], -v[32:33]
	v_add_f64 v[26:27], v[14:15], -v[34:35]
	s_delay_alu instid0(VALU_DEP_2) | instskip(SKIP_1) | instid1(VALU_DEP_3)
	v_fma_f64 v[4:5], v[12:13], 2.0, -v[24:25]
	v_add_f64 v[12:13], v[28:29], -v[36:37]
	v_fma_f64 v[6:7], v[14:15], 2.0, -v[26:27]
	v_add_f64 v[14:15], v[30:31], -v[38:39]
	s_delay_alu instid0(VALU_DEP_3) | instskip(SKIP_3) | instid1(VALU_DEP_2)
	v_fma_f64 v[0:1], v[28:29], 2.0, -v[12:13]
	scratch_load_b32 v28, off, off offset:356 ; 4-byte Folded Reload
	v_fma_f64 v[2:3], v[30:31], 2.0, -v[14:15]
	v_add_f64 v[0:1], v[4:5], -v[0:1]
	v_add_f64 v[2:3], v[6:7], -v[2:3]
	s_delay_alu instid0(VALU_DEP_2) | instskip(NEXT) | instid1(VALU_DEP_2)
	v_fma_f64 v[4:5], v[4:5], 2.0, -v[0:1]
	v_fma_f64 v[6:7], v[6:7], 2.0, -v[2:3]
	s_waitcnt vmcnt(0)
	ds_store_b128 v28, v[4:7]
	v_add_f64 v[4:5], v[24:25], v[14:15]
	v_add_f64 v[6:7], v[26:27], -v[12:13]
	s_delay_alu instid0(VALU_DEP_2) | instskip(NEXT) | instid1(VALU_DEP_2)
	v_fma_f64 v[12:13], v[24:25], 2.0, -v[4:5]
	v_fma_f64 v[14:15], v[26:27], 2.0, -v[6:7]
	ds_store_b128 v28, v[12:15] offset:160
	ds_store_b128 v28, v[0:3] offset:320
	;; [unrolled: 1-line block ×3, first 2 shown]
	v_add_f64 v[12:13], v[16:17], -v[44:45]
	v_add_f64 v[14:15], v[18:19], -v[46:47]
	s_delay_alu instid0(VALU_DEP_2) | instskip(NEXT) | instid1(VALU_DEP_2)
	v_fma_f64 v[4:5], v[16:17], 2.0, -v[12:13]
	v_fma_f64 v[6:7], v[18:19], 2.0, -v[14:15]
	v_add_f64 v[16:17], v[40:41], -v[48:49]
	v_add_f64 v[18:19], v[42:43], -v[50:51]
	s_delay_alu instid0(VALU_DEP_2) | instskip(NEXT) | instid1(VALU_DEP_2)
	v_fma_f64 v[0:1], v[40:41], 2.0, -v[16:17]
	v_fma_f64 v[2:3], v[42:43], 2.0, -v[18:19]
	s_delay_alu instid0(VALU_DEP_2) | instskip(NEXT) | instid1(VALU_DEP_2)
	v_add_f64 v[0:1], v[4:5], -v[0:1]
	v_add_f64 v[2:3], v[6:7], -v[2:3]
	s_delay_alu instid0(VALU_DEP_2) | instskip(NEXT) | instid1(VALU_DEP_2)
	v_fma_f64 v[4:5], v[4:5], 2.0, -v[0:1]
	v_fma_f64 v[6:7], v[6:7], 2.0, -v[2:3]
	ds_store_b128 v255, v[4:7]
	v_add_f64 v[4:5], v[12:13], v[18:19]
	v_add_f64 v[6:7], v[14:15], -v[16:17]
	v_add_f64 v[16:17], v[52:53], -v[60:61]
	;; [unrolled: 1-line block ×3, first 2 shown]
	s_delay_alu instid0(VALU_DEP_4) | instskip(NEXT) | instid1(VALU_DEP_4)
	v_fma_f64 v[12:13], v[12:13], 2.0, -v[4:5]
	v_fma_f64 v[14:15], v[14:15], 2.0, -v[6:7]
	ds_store_b128 v255, v[12:15] offset:160
	ds_store_b128 v255, v[0:3] offset:320
	;; [unrolled: 1-line block ×3, first 2 shown]
	v_add_f64 v[12:13], v[20:21], -v[56:57]
	v_add_f64 v[14:15], v[22:23], -v[58:59]
	v_fma_f64 v[0:1], v[52:53], 2.0, -v[16:17]
	v_fma_f64 v[2:3], v[54:55], 2.0, -v[18:19]
	s_delay_alu instid0(VALU_DEP_4) | instskip(SKIP_3) | instid1(VALU_DEP_2)
	v_fma_f64 v[4:5], v[20:21], 2.0, -v[12:13]
	scratch_load_b32 v20, off, off offset:352 ; 4-byte Folded Reload
	v_fma_f64 v[6:7], v[22:23], 2.0, -v[14:15]
	v_add_f64 v[0:1], v[4:5], -v[0:1]
	v_add_f64 v[2:3], v[6:7], -v[2:3]
	s_delay_alu instid0(VALU_DEP_2) | instskip(NEXT) | instid1(VALU_DEP_2)
	v_fma_f64 v[4:5], v[4:5], 2.0, -v[0:1]
	v_fma_f64 v[6:7], v[6:7], 2.0, -v[2:3]
	s_waitcnt vmcnt(0)
	ds_store_b128 v20, v[4:7]
	v_add_f64 v[4:5], v[12:13], v[18:19]
	v_add_f64 v[6:7], v[14:15], -v[16:17]
	s_delay_alu instid0(VALU_DEP_2) | instskip(NEXT) | instid1(VALU_DEP_2)
	v_fma_f64 v[12:13], v[12:13], 2.0, -v[4:5]
	v_fma_f64 v[14:15], v[14:15], 2.0, -v[6:7]
	ds_store_b128 v20, v[12:15] offset:160
	ds_store_b128 v20, v[0:3] offset:320
	;; [unrolled: 1-line block ×3, first 2 shown]
	scratch_load_b32 v16, off, off offset:348 ; 4-byte Folded Reload
	v_add_f64 v[12:13], v[8:9], -v[68:69]
	v_add_f64 v[14:15], v[10:11], -v[70:71]
	s_delay_alu instid0(VALU_DEP_2) | instskip(NEXT) | instid1(VALU_DEP_2)
	v_fma_f64 v[4:5], v[8:9], 2.0, -v[12:13]
	v_fma_f64 v[6:7], v[10:11], 2.0, -v[14:15]
	v_add_f64 v[8:9], v[64:65], -v[72:73]
	v_add_f64 v[10:11], v[66:67], -v[74:75]
	s_delay_alu instid0(VALU_DEP_2) | instskip(NEXT) | instid1(VALU_DEP_2)
	v_fma_f64 v[0:1], v[64:65], 2.0, -v[8:9]
	v_fma_f64 v[2:3], v[66:67], 2.0, -v[10:11]
	s_delay_alu instid0(VALU_DEP_2) | instskip(NEXT) | instid1(VALU_DEP_2)
	v_add_f64 v[0:1], v[4:5], -v[0:1]
	v_add_f64 v[2:3], v[6:7], -v[2:3]
	s_delay_alu instid0(VALU_DEP_2) | instskip(NEXT) | instid1(VALU_DEP_2)
	v_fma_f64 v[4:5], v[4:5], 2.0, -v[0:1]
	v_fma_f64 v[6:7], v[6:7], 2.0, -v[2:3]
	s_waitcnt vmcnt(0)
	ds_store_b128 v16, v[4:7]
	v_add_f64 v[4:5], v[12:13], v[10:11]
	v_add_f64 v[6:7], v[14:15], -v[8:9]
	s_delay_alu instid0(VALU_DEP_2) | instskip(NEXT) | instid1(VALU_DEP_2)
	v_fma_f64 v[8:9], v[12:13], 2.0, -v[4:5]
	v_fma_f64 v[10:11], v[14:15], 2.0, -v[6:7]
	ds_store_b128 v16, v[8:11] offset:160
	ds_store_b128 v16, v[0:3] offset:320
	;; [unrolled: 1-line block ×3, first 2 shown]
	s_waitcnt lgkmcnt(0)
	s_barrier
	buffer_gl0_inv
	ds_load_b128 v[0:3], v246 offset:1280
	s_waitcnt lgkmcnt(0)
	v_mul_f64 v[4:5], v[183:184], v[2:3]
	s_delay_alu instid0(VALU_DEP_1) | instskip(SKIP_1) | instid1(VALU_DEP_1)
	v_fma_f64 v[145:146], v[181:182], v[0:1], v[4:5]
	v_mul_f64 v[0:1], v[183:184], v[0:1]
	v_fma_f64 v[147:148], v[181:182], v[2:3], -v[0:1]
	ds_load_b128 v[0:3], v246 offset:2560
	s_waitcnt lgkmcnt(0)
	v_mul_f64 v[4:5], v[199:200], v[2:3]
	s_delay_alu instid0(VALU_DEP_1) | instskip(SKIP_1) | instid1(VALU_DEP_1)
	v_fma_f64 v[4:5], v[197:198], v[0:1], v[4:5]
	v_mul_f64 v[0:1], v[199:200], v[0:1]
	v_fma_f64 v[6:7], v[197:198], v[2:3], -v[0:1]
	;; [unrolled: 7-line block ×5, first 2 shown]
	ds_load_b128 v[0:3], v246 offset:4096
	s_waitcnt lgkmcnt(0)
	v_mul_f64 v[12:13], v[227:228], v[2:3]
	s_delay_alu instid0(VALU_DEP_1) | instskip(SKIP_1) | instid1(VALU_DEP_2)
	v_fma_f64 v[169:170], v[225:226], v[0:1], v[12:13]
	v_mul_f64 v[0:1], v[227:228], v[0:1]
	v_add_f64 v[14:15], v[149:150], -v[169:170]
	s_delay_alu instid0(VALU_DEP_2) | instskip(SKIP_3) | instid1(VALU_DEP_1)
	v_fma_f64 v[179:180], v[225:226], v[2:3], -v[0:1]
	ds_load_b128 v[0:3], v246 offset:1792
	s_waitcnt lgkmcnt(0)
	v_mul_f64 v[12:13], v[231:232], v[2:3]
	v_fma_f64 v[153:154], v[229:230], v[0:1], v[12:13]
	v_mul_f64 v[0:1], v[231:232], v[0:1]
	s_delay_alu instid0(VALU_DEP_1) | instskip(SKIP_3) | instid1(VALU_DEP_1)
	v_fma_f64 v[155:156], v[229:230], v[2:3], -v[0:1]
	ds_load_b128 v[0:3], v246 offset:3072
	s_waitcnt lgkmcnt(0)
	v_mul_f64 v[12:13], v[211:212], v[2:3]
	v_fma_f64 v[173:174], v[209:210], v[0:1], v[12:13]
	v_mul_f64 v[0:1], v[211:212], v[0:1]
	s_delay_alu instid0(VALU_DEP_1) | instskip(SKIP_3) | instid1(VALU_DEP_1)
	v_fma_f64 v[181:182], v[209:210], v[2:3], -v[0:1]
	ds_load_b128 v[0:3], v246 offset:4352
	s_waitcnt lgkmcnt(0)
	v_mul_f64 v[12:13], v[203:204], v[2:3]
	v_fma_f64 v[193:194], v[201:202], v[0:1], v[12:13]
	v_mul_f64 v[0:1], v[203:204], v[0:1]
	v_add_f64 v[203:204], v[145:146], -v[8:9]
	s_delay_alu instid0(VALU_DEP_2) | instskip(SKIP_4) | instid1(VALU_DEP_1)
	v_fma_f64 v[195:196], v[201:202], v[2:3], -v[0:1]
	ds_load_b128 v[0:3], v246 offset:2048
	v_add_f64 v[201:202], v[147:148], -v[10:11]
	s_waitcnt lgkmcnt(0)
	v_mul_f64 v[12:13], v[207:208], v[2:3]
	v_fma_f64 v[157:158], v[205:206], v[0:1], v[12:13]
	v_mul_f64 v[0:1], v[207:208], v[0:1]
	s_delay_alu instid0(VALU_DEP_1) | instskip(SKIP_3) | instid1(VALU_DEP_1)
	v_fma_f64 v[159:160], v[205:206], v[2:3], -v[0:1]
	ds_load_b128 v[0:3], v246 offset:3328
	s_waitcnt lgkmcnt(0)
	v_mul_f64 v[12:13], v[215:216], v[2:3]
	v_fma_f64 v[171:172], v[213:214], v[0:1], v[12:13]
	v_mul_f64 v[0:1], v[215:216], v[0:1]
	s_delay_alu instid0(VALU_DEP_1) | instskip(SKIP_3) | instid1(VALU_DEP_1)
	v_fma_f64 v[175:176], v[213:214], v[2:3], -v[0:1]
	ds_load_b128 v[0:3], v246 offset:4608
	s_waitcnt lgkmcnt(0)
	v_mul_f64 v[12:13], v[219:220], v[2:3]
	v_fma_f64 v[177:178], v[217:218], v[0:1], v[12:13]
	v_mul_f64 v[0:1], v[219:220], v[0:1]
	s_delay_alu instid0(VALU_DEP_2) | instskip(NEXT) | instid1(VALU_DEP_2)
	v_add_f64 v[16:17], v[157:158], -v[177:178]
	v_fma_f64 v[183:184], v[217:218], v[2:3], -v[0:1]
	ds_load_b128 v[0:3], v246 offset:2304
	s_waitcnt lgkmcnt(0)
	v_mul_f64 v[12:13], v[223:224], v[2:3]
	v_add_f64 v[18:19], v[159:160], -v[183:184]
	s_delay_alu instid0(VALU_DEP_2) | instskip(SKIP_1) | instid1(VALU_DEP_1)
	v_fma_f64 v[163:164], v[221:222], v[0:1], v[12:13]
	v_mul_f64 v[0:1], v[223:224], v[0:1]
	v_fma_f64 v[167:168], v[221:222], v[2:3], -v[0:1]
	ds_load_b128 v[0:3], v246 offset:3584
	s_waitcnt lgkmcnt(0)
	v_mul_f64 v[12:13], v[239:240], v[2:3]
	s_delay_alu instid0(VALU_DEP_1) | instskip(SKIP_1) | instid1(VALU_DEP_1)
	v_fma_f64 v[185:186], v[237:238], v[0:1], v[12:13]
	v_mul_f64 v[0:1], v[239:240], v[0:1]
	v_fma_f64 v[187:188], v[237:238], v[2:3], -v[0:1]
	ds_load_b128 v[0:3], v246 offset:4864
	s_waitcnt lgkmcnt(0)
	v_mul_f64 v[12:13], v[235:236], v[2:3]
	s_delay_alu instid0(VALU_DEP_1) | instskip(SKIP_2) | instid1(VALU_DEP_3)
	v_fma_f64 v[189:190], v[233:234], v[0:1], v[12:13]
	v_mul_f64 v[0:1], v[235:236], v[0:1]
	v_add_f64 v[12:13], v[151:152], -v[179:180]
	v_add_f64 v[24:25], v[163:164], -v[189:190]
	s_delay_alu instid0(VALU_DEP_3)
	v_fma_f64 v[191:192], v[233:234], v[2:3], -v[0:1]
	ds_load_b128 v[0:3], v246
	ds_load_b128 v[141:144], v246 offset:256
	ds_load_b128 v[81:84], v246 offset:1024
	;; [unrolled: 1-line block ×4, first 2 shown]
	s_waitcnt lgkmcnt(0)
	s_barrier
	buffer_gl0_inv
	v_add_f64 v[20:21], v[81:82], -v[185:186]
	v_add_f64 v[4:5], v[0:1], -v[4:5]
	;; [unrolled: 1-line block ×5, first 2 shown]
	s_delay_alu instid0(VALU_DEP_4) | instskip(NEXT) | instid1(VALU_DEP_4)
	v_add_f64 v[129:130], v[4:5], v[201:202]
	v_add_f64 v[131:132], v[6:7], -v[203:204]
	v_fma_f64 v[197:198], v[0:1], 2.0, -v[4:5]
	v_fma_f64 v[199:200], v[2:3], 2.0, -v[6:7]
	s_delay_alu instid0(VALU_DEP_4) | instskip(NEXT) | instid1(VALU_DEP_4)
	v_fma_f64 v[137:138], v[4:5], 2.0, -v[129:130]
	v_fma_f64 v[139:140], v[6:7], 2.0, -v[131:132]
	v_add_f64 v[4:5], v[141:142], -v[161:162]
	v_add_f64 v[6:7], v[143:144], -v[165:166]
	ds_store_b128 v246, v[129:132] offset:1920
	v_add_f64 v[0:1], v[4:5], v[12:13]
	v_add_f64 v[2:3], v[6:7], -v[14:15]
	v_fma_f64 v[8:9], v[141:142], 2.0, -v[4:5]
	v_fma_f64 v[10:11], v[143:144], 2.0, -v[6:7]
	s_delay_alu instid0(VALU_DEP_4) | instskip(NEXT) | instid1(VALU_DEP_4)
	v_fma_f64 v[4:5], v[4:5], 2.0, -v[0:1]
	v_fma_f64 v[6:7], v[6:7], 2.0, -v[2:3]
	ds_store_b128 v246, v[0:3] offset:2176
	ds_store_b128 v246, v[137:140] offset:640
	ds_store_b128 v246, v[4:7] offset:896
	v_fma_f64 v[0:1], v[145:146], 2.0, -v[203:204]
	v_fma_f64 v[2:3], v[147:148], 2.0, -v[201:202]
	s_delay_alu instid0(VALU_DEP_2) | instskip(NEXT) | instid1(VALU_DEP_2)
	v_add_f64 v[0:1], v[197:198], -v[0:1]
	v_add_f64 v[2:3], v[199:200], -v[2:3]
	s_delay_alu instid0(VALU_DEP_2) | instskip(NEXT) | instid1(VALU_DEP_2)
	v_fma_f64 v[4:5], v[197:198], 2.0, -v[0:1]
	v_fma_f64 v[6:7], v[199:200], 2.0, -v[2:3]
	ds_store_b128 v246, v[0:3] offset:1280
	v_fma_f64 v[0:1], v[149:150], 2.0, -v[14:15]
	v_fma_f64 v[2:3], v[151:152], 2.0, -v[12:13]
	v_add_f64 v[12:13], v[153:154], -v[193:194]
	v_add_f64 v[14:15], v[155:156], -v[195:196]
	s_delay_alu instid0(VALU_DEP_4) | instskip(NEXT) | instid1(VALU_DEP_4)
	v_add_f64 v[0:1], v[8:9], -v[0:1]
	v_add_f64 v[2:3], v[10:11], -v[2:3]
	s_delay_alu instid0(VALU_DEP_2) | instskip(NEXT) | instid1(VALU_DEP_2)
	v_fma_f64 v[8:9], v[8:9], 2.0, -v[0:1]
	v_fma_f64 v[10:11], v[10:11], 2.0, -v[2:3]
	ds_store_b128 v246, v[0:3] offset:1536
	ds_store_b128 v246, v[4:7]
	ds_store_b128 v246, v[8:11] offset:256
	v_add_f64 v[8:9], v[133:134], -v[173:174]
	v_add_f64 v[10:11], v[135:136], -v[181:182]
	v_fma_f64 v[0:1], v[153:154], 2.0, -v[12:13]
	v_fma_f64 v[2:3], v[155:156], 2.0, -v[14:15]
	s_delay_alu instid0(VALU_DEP_4) | instskip(NEXT) | instid1(VALU_DEP_4)
	v_fma_f64 v[4:5], v[133:134], 2.0, -v[8:9]
	v_fma_f64 v[6:7], v[135:136], 2.0, -v[10:11]
	s_delay_alu instid0(VALU_DEP_2) | instskip(NEXT) | instid1(VALU_DEP_2)
	v_add_f64 v[0:1], v[4:5], -v[0:1]
	v_add_f64 v[2:3], v[6:7], -v[2:3]
	s_delay_alu instid0(VALU_DEP_2) | instskip(NEXT) | instid1(VALU_DEP_2)
	v_fma_f64 v[4:5], v[4:5], 2.0, -v[0:1]
	v_fma_f64 v[6:7], v[6:7], 2.0, -v[2:3]
	ds_store_b128 v254, v[4:7]
	v_add_f64 v[4:5], v[8:9], v[14:15]
	v_add_f64 v[6:7], v[10:11], -v[12:13]
	v_add_f64 v[12:13], v[125:126], -v[171:172]
	;; [unrolled: 1-line block ×3, first 2 shown]
	s_delay_alu instid0(VALU_DEP_4) | instskip(NEXT) | instid1(VALU_DEP_4)
	v_fma_f64 v[8:9], v[8:9], 2.0, -v[4:5]
	v_fma_f64 v[10:11], v[10:11], 2.0, -v[6:7]
	ds_store_b128 v254, v[8:11] offset:640
	ds_store_b128 v254, v[0:3] offset:1280
	ds_store_b128 v254, v[4:7] offset:1920
	v_fma_f64 v[4:5], v[125:126], 2.0, -v[12:13]
	v_fma_f64 v[6:7], v[127:128], 2.0, -v[14:15]
	;; [unrolled: 1-line block ×6, first 2 shown]
	s_delay_alu instid0(VALU_DEP_4) | instskip(NEXT) | instid1(VALU_DEP_4)
	v_add_f64 v[0:1], v[4:5], -v[0:1]
	v_add_f64 v[2:3], v[6:7], -v[2:3]
	s_delay_alu instid0(VALU_DEP_2) | instskip(NEXT) | instid1(VALU_DEP_2)
	v_fma_f64 v[4:5], v[4:5], 2.0, -v[0:1]
	v_fma_f64 v[6:7], v[6:7], 2.0, -v[2:3]
	ds_store_b128 v246, v[4:7] offset:2688
	v_fma_f64 v[4:5], v[163:164], 2.0, -v[24:25]
	v_fma_f64 v[6:7], v[167:168], 2.0, -v[26:27]
	s_delay_alu instid0(VALU_DEP_2) | instskip(NEXT) | instid1(VALU_DEP_2)
	v_add_f64 v[4:5], v[8:9], -v[4:5]
	v_add_f64 v[6:7], v[10:11], -v[6:7]
	s_delay_alu instid0(VALU_DEP_2) | instskip(NEXT) | instid1(VALU_DEP_2)
	v_fma_f64 v[8:9], v[8:9], 2.0, -v[4:5]
	v_fma_f64 v[10:11], v[10:11], 2.0, -v[6:7]
	ds_store_b128 v246, v[8:11] offset:2944
	v_add_f64 v[8:9], v[12:13], v[18:19]
	v_add_f64 v[10:11], v[14:15], -v[16:17]
	s_delay_alu instid0(VALU_DEP_2) | instskip(NEXT) | instid1(VALU_DEP_2)
	v_fma_f64 v[12:13], v[12:13], 2.0, -v[8:9]
	v_fma_f64 v[14:15], v[14:15], 2.0, -v[10:11]
	ds_store_b128 v246, v[12:15] offset:3328
	v_add_f64 v[12:13], v[20:21], v[26:27]
	v_add_f64 v[14:15], v[22:23], -v[24:25]
	s_delay_alu instid0(VALU_DEP_2) | instskip(NEXT) | instid1(VALU_DEP_2)
	v_fma_f64 v[16:17], v[20:21], 2.0, -v[12:13]
	v_fma_f64 v[18:19], v[22:23], 2.0, -v[14:15]
	ds_store_b128 v246, v[16:19] offset:3584
	ds_store_b128 v246, v[0:3] offset:3968
	ds_store_b128 v246, v[4:7] offset:4224
	ds_store_b128 v246, v[8:11] offset:4608
	ds_store_b128 v246, v[12:15] offset:4864
	s_waitcnt lgkmcnt(0)
	s_barrier
	buffer_gl0_inv
	ds_load_b128 v[0:3], v246 offset:2560
	ds_load_b128 v[16:19], v246 offset:512
	ds_load_b128 v[24:27], v246 offset:768
	ds_load_b128 v[32:35], v246 offset:1024
	ds_load_b128 v[40:43], v246 offset:1280
	ds_load_b128 v[48:51], v246 offset:1536
	ds_load_b128 v[56:59], v246 offset:1792
	ds_load_b128 v[64:67], v246 offset:2048
	ds_load_b128 v[72:75], v246 offset:2304
	s_waitcnt lgkmcnt(8)
	v_mul_f64 v[4:5], v[243:244], v[2:3]
	s_delay_alu instid0(VALU_DEP_1) | instskip(SKIP_1) | instid1(VALU_DEP_1)
	v_fma_f64 v[4:5], v[241:242], v[0:1], v[4:5]
	v_mul_f64 v[0:1], v[243:244], v[0:1]
	v_fma_f64 v[6:7], v[241:242], v[2:3], -v[0:1]
	ds_load_b128 v[0:3], v246 offset:2816
	s_waitcnt lgkmcnt(0)
	v_mul_f64 v[8:9], v[91:92], v[2:3]
	s_delay_alu instid0(VALU_DEP_1) | instskip(SKIP_1) | instid1(VALU_DEP_1)
	v_fma_f64 v[12:13], v[89:90], v[0:1], v[8:9]
	v_mul_f64 v[0:1], v[91:92], v[0:1]
	v_fma_f64 v[14:15], v[89:90], v[2:3], -v[0:1]
	ds_load_b128 v[0:3], v246 offset:3072
	s_waitcnt lgkmcnt(0)
	v_mul_f64 v[8:9], v[95:96], v[2:3]
	s_delay_alu instid0(VALU_DEP_1) | instskip(SKIP_1) | instid1(VALU_DEP_2)
	v_fma_f64 v[20:21], v[93:94], v[0:1], v[8:9]
	v_mul_f64 v[0:1], v[95:96], v[0:1]
	v_add_f64 v[20:21], v[16:17], -v[20:21]
	s_delay_alu instid0(VALU_DEP_2)
	v_fma_f64 v[22:23], v[93:94], v[2:3], -v[0:1]
	ds_load_b128 v[0:3], v246 offset:3328
	s_waitcnt lgkmcnt(0)
	v_mul_f64 v[8:9], v[99:100], v[2:3]
	v_fma_f64 v[16:17], v[16:17], 2.0, -v[20:21]
	v_add_f64 v[22:23], v[18:19], -v[22:23]
	s_delay_alu instid0(VALU_DEP_3) | instskip(SKIP_1) | instid1(VALU_DEP_3)
	v_fma_f64 v[28:29], v[97:98], v[0:1], v[8:9]
	v_mul_f64 v[0:1], v[99:100], v[0:1]
	v_fma_f64 v[18:19], v[18:19], 2.0, -v[22:23]
	s_delay_alu instid0(VALU_DEP_3) | instskip(NEXT) | instid1(VALU_DEP_3)
	v_add_f64 v[28:29], v[24:25], -v[28:29]
	v_fma_f64 v[30:31], v[97:98], v[2:3], -v[0:1]
	ds_load_b128 v[0:3], v246 offset:3584
	s_waitcnt lgkmcnt(0)
	v_mul_f64 v[8:9], v[103:104], v[2:3]
	v_fma_f64 v[24:25], v[24:25], 2.0, -v[28:29]
	v_add_f64 v[30:31], v[26:27], -v[30:31]
	s_delay_alu instid0(VALU_DEP_3) | instskip(SKIP_1) | instid1(VALU_DEP_3)
	v_fma_f64 v[36:37], v[101:102], v[0:1], v[8:9]
	v_mul_f64 v[0:1], v[103:104], v[0:1]
	v_fma_f64 v[26:27], v[26:27], 2.0, -v[30:31]
	s_delay_alu instid0(VALU_DEP_3) | instskip(NEXT) | instid1(VALU_DEP_3)
	v_add_f64 v[36:37], v[32:33], -v[36:37]
	v_fma_f64 v[38:39], v[101:102], v[2:3], -v[0:1]
	ds_load_b128 v[0:3], v246 offset:3840
	s_waitcnt lgkmcnt(0)
	v_mul_f64 v[8:9], v[107:108], v[2:3]
	v_fma_f64 v[32:33], v[32:33], 2.0, -v[36:37]
	v_add_f64 v[38:39], v[34:35], -v[38:39]
	s_delay_alu instid0(VALU_DEP_3) | instskip(SKIP_1) | instid1(VALU_DEP_3)
	v_fma_f64 v[44:45], v[105:106], v[0:1], v[8:9]
	v_mul_f64 v[0:1], v[107:108], v[0:1]
	v_fma_f64 v[34:35], v[34:35], 2.0, -v[38:39]
	s_delay_alu instid0(VALU_DEP_3) | instskip(NEXT) | instid1(VALU_DEP_3)
	v_add_f64 v[44:45], v[40:41], -v[44:45]
	v_fma_f64 v[46:47], v[105:106], v[2:3], -v[0:1]
	ds_load_b128 v[0:3], v246 offset:4096
	s_waitcnt lgkmcnt(0)
	v_mul_f64 v[8:9], v[111:112], v[2:3]
	v_fma_f64 v[40:41], v[40:41], 2.0, -v[44:45]
	v_add_f64 v[46:47], v[42:43], -v[46:47]
	s_delay_alu instid0(VALU_DEP_3) | instskip(SKIP_1) | instid1(VALU_DEP_3)
	v_fma_f64 v[52:53], v[109:110], v[0:1], v[8:9]
	v_mul_f64 v[0:1], v[111:112], v[0:1]
	v_fma_f64 v[42:43], v[42:43], 2.0, -v[46:47]
	s_delay_alu instid0(VALU_DEP_3) | instskip(NEXT) | instid1(VALU_DEP_3)
	v_add_f64 v[52:53], v[48:49], -v[52:53]
	v_fma_f64 v[54:55], v[109:110], v[2:3], -v[0:1]
	ds_load_b128 v[0:3], v246 offset:4352
	s_waitcnt lgkmcnt(0)
	v_mul_f64 v[8:9], v[115:116], v[2:3]
	v_fma_f64 v[48:49], v[48:49], 2.0, -v[52:53]
	v_add_f64 v[54:55], v[50:51], -v[54:55]
	s_delay_alu instid0(VALU_DEP_3) | instskip(SKIP_1) | instid1(VALU_DEP_3)
	v_fma_f64 v[60:61], v[113:114], v[0:1], v[8:9]
	v_mul_f64 v[0:1], v[115:116], v[0:1]
	v_fma_f64 v[50:51], v[50:51], 2.0, -v[54:55]
	s_delay_alu instid0(VALU_DEP_3) | instskip(NEXT) | instid1(VALU_DEP_3)
	v_add_f64 v[60:61], v[56:57], -v[60:61]
	v_fma_f64 v[62:63], v[113:114], v[2:3], -v[0:1]
	ds_load_b128 v[0:3], v246 offset:4608
	s_waitcnt lgkmcnt(0)
	v_mul_f64 v[8:9], v[119:120], v[2:3]
	v_fma_f64 v[56:57], v[56:57], 2.0, -v[60:61]
	v_add_f64 v[62:63], v[58:59], -v[62:63]
	s_delay_alu instid0(VALU_DEP_3) | instskip(SKIP_1) | instid1(VALU_DEP_3)
	v_fma_f64 v[68:69], v[117:118], v[0:1], v[8:9]
	v_mul_f64 v[0:1], v[119:120], v[0:1]
	v_fma_f64 v[58:59], v[58:59], 2.0, -v[62:63]
	s_delay_alu instid0(VALU_DEP_3) | instskip(NEXT) | instid1(VALU_DEP_3)
	v_add_f64 v[68:69], v[64:65], -v[68:69]
	v_fma_f64 v[70:71], v[117:118], v[2:3], -v[0:1]
	ds_load_b128 v[0:3], v246 offset:4864
	s_waitcnt lgkmcnt(0)
	v_mul_f64 v[8:9], v[123:124], v[2:3]
	v_fma_f64 v[64:65], v[64:65], 2.0, -v[68:69]
	v_add_f64 v[70:71], v[66:67], -v[70:71]
	s_delay_alu instid0(VALU_DEP_3)
	v_fma_f64 v[76:77], v[121:122], v[0:1], v[8:9]
	v_mul_f64 v[0:1], v[123:124], v[0:1]
	ds_load_b128 v[8:11], v246 offset:256
	v_fma_f64 v[66:67], v[66:67], 2.0, -v[70:71]
	s_waitcnt lgkmcnt(0)
	v_add_f64 v[12:13], v[8:9], -v[12:13]
	v_add_f64 v[14:15], v[10:11], -v[14:15]
	;; [unrolled: 1-line block ×3, first 2 shown]
	v_fma_f64 v[78:79], v[121:122], v[2:3], -v[0:1]
	ds_load_b128 v[0:3], v246
	s_waitcnt lgkmcnt(0)
	v_add_f64 v[4:5], v[0:1], -v[4:5]
	v_add_f64 v[6:7], v[2:3], -v[6:7]
	v_fma_f64 v[8:9], v[8:9], 2.0, -v[12:13]
	v_fma_f64 v[10:11], v[10:11], 2.0, -v[14:15]
	;; [unrolled: 1-line block ×3, first 2 shown]
	v_add_f64 v[78:79], v[74:75], -v[78:79]
	v_fma_f64 v[0:1], v[0:1], 2.0, -v[4:5]
	v_fma_f64 v[2:3], v[2:3], 2.0, -v[6:7]
	s_delay_alu instid0(VALU_DEP_3)
	v_fma_f64 v[74:75], v[74:75], 2.0, -v[78:79]
	ds_store_b128 v246, v[12:15] offset:2816
	ds_store_b128 v246, v[4:7] offset:2560
	ds_store_b128 v246, v[0:3]
	ds_store_b128 v246, v[8:11] offset:256
	ds_store_b128 v246, v[16:19] offset:512
	;; [unrolled: 1-line block ×17, first 2 shown]
	s_waitcnt lgkmcnt(0)
	s_barrier
	buffer_gl0_inv
	s_clause 0x7
	scratch_load_b128 v[6:9], off, off offset:304
	scratch_load_b128 v[82:85], off, off offset:288
	;; [unrolled: 1-line block ×8, first 2 shown]
	ds_load_b128 v[0:3], v246
	s_clause 0xb
	scratch_load_b128 v[22:25], off, off
	scratch_load_b128 v[26:29], off, off offset:16
	scratch_load_b128 v[30:33], off, off offset:32
	;; [unrolled: 1-line block ×11, first 2 shown]
	s_waitcnt vmcnt(19) lgkmcnt(0)
	v_mul_f64 v[4:5], v[8:9], v[2:3]
	s_delay_alu instid0(VALU_DEP_1) | instskip(SKIP_1) | instid1(VALU_DEP_1)
	v_fma_f64 v[4:5], v[6:7], v[0:1], v[4:5]
	v_mul_f64 v[0:1], v[8:9], v[0:1]
	v_fma_f64 v[6:7], v[6:7], v[2:3], -v[0:1]
	ds_load_b128 v[0:3], v246 offset:512
	s_waitcnt vmcnt(17) lgkmcnt(0)
	v_mul_f64 v[8:9], v[12:13], v[2:3]
	s_delay_alu instid0(VALU_DEP_1) | instskip(SKIP_1) | instid1(VALU_DEP_1)
	v_fma_f64 v[8:9], v[10:11], v[0:1], v[8:9]
	v_mul_f64 v[0:1], v[12:13], v[0:1]
	v_fma_f64 v[10:11], v[10:11], v[2:3], -v[0:1]
	ds_load_b128 v[0:3], v246 offset:1024
	;; [unrolled: 7-line block ×8, first 2 shown]
	s_waitcnt lgkmcnt(0)
	v_mul_f64 v[36:37], v[40:41], v[2:3]
	s_delay_alu instid0(VALU_DEP_1) | instskip(SKIP_1) | instid1(VALU_DEP_1)
	v_fma_f64 v[36:37], v[38:39], v[0:1], v[36:37]
	v_mul_f64 v[0:1], v[40:41], v[0:1]
	v_fma_f64 v[38:39], v[38:39], v[2:3], -v[0:1]
	ds_load_b128 v[0:3], v245 offset:4608
	s_waitcnt lgkmcnt(0)
	v_mul_f64 v[40:41], v[44:45], v[2:3]
	s_delay_alu instid0(VALU_DEP_1) | instskip(SKIP_1) | instid1(VALU_DEP_1)
	v_fma_f64 v[40:41], v[42:43], v[0:1], v[40:41]
	v_mul_f64 v[0:1], v[44:45], v[0:1]
	v_fma_f64 v[42:43], v[42:43], v[2:3], -v[0:1]
	ds_load_b128 v[0:3], v246 offset:256
	s_waitcnt vmcnt(7) lgkmcnt(0)
	v_mul_f64 v[44:45], v[48:49], v[2:3]
	s_delay_alu instid0(VALU_DEP_1) | instskip(SKIP_1) | instid1(VALU_DEP_1)
	v_fma_f64 v[44:45], v[46:47], v[0:1], v[44:45]
	v_mul_f64 v[0:1], v[48:49], v[0:1]
	v_fma_f64 v[46:47], v[46:47], v[2:3], -v[0:1]
	ds_load_b128 v[0:3], v246 offset:768
	s_waitcnt vmcnt(6) lgkmcnt(0)
	v_mul_f64 v[48:49], v[52:53], v[2:3]
	s_delay_alu instid0(VALU_DEP_1) | instskip(SKIP_1) | instid1(VALU_DEP_1)
	v_fma_f64 v[48:49], v[50:51], v[0:1], v[48:49]
	v_mul_f64 v[0:1], v[52:53], v[0:1]
	v_fma_f64 v[50:51], v[50:51], v[2:3], -v[0:1]
	ds_load_b128 v[0:3], v245 offset:1280
	s_waitcnt lgkmcnt(0)
	v_mul_f64 v[52:53], v[56:57], v[2:3]
	s_delay_alu instid0(VALU_DEP_1) | instskip(SKIP_1) | instid1(VALU_DEP_1)
	v_fma_f64 v[52:53], v[54:55], v[0:1], v[52:53]
	v_mul_f64 v[0:1], v[56:57], v[0:1]
	v_fma_f64 v[54:55], v[54:55], v[2:3], -v[0:1]
	ds_load_b128 v[0:3], v245 offset:1792
	s_waitcnt vmcnt(5) lgkmcnt(0)
	v_mul_f64 v[56:57], v[60:61], v[2:3]
	s_delay_alu instid0(VALU_DEP_1) | instskip(SKIP_1) | instid1(VALU_DEP_1)
	v_fma_f64 v[56:57], v[58:59], v[0:1], v[56:57]
	v_mul_f64 v[0:1], v[60:61], v[0:1]
	v_fma_f64 v[58:59], v[58:59], v[2:3], -v[0:1]
	ds_load_b128 v[0:3], v245 offset:2304
	s_waitcnt vmcnt(4) lgkmcnt(0)
	;; [unrolled: 7-line block ×6, first 2 shown]
	v_mul_f64 v[76:77], v[80:81], v[2:3]
	s_delay_alu instid0(VALU_DEP_1) | instskip(SKIP_1) | instid1(VALU_DEP_1)
	v_fma_f64 v[76:77], v[78:79], v[0:1], v[76:77]
	v_mul_f64 v[0:1], v[80:81], v[0:1]
	v_fma_f64 v[78:79], v[78:79], v[2:3], -v[0:1]
	ds_load_b128 v[0:3], v245 offset:4864
	s_waitcnt lgkmcnt(0)
	v_mul_f64 v[80:81], v[84:85], v[2:3]
	s_delay_alu instid0(VALU_DEP_1) | instskip(SKIP_1) | instid1(VALU_DEP_1)
	v_fma_f64 v[80:81], v[82:83], v[0:1], v[80:81]
	v_mul_f64 v[0:1], v[84:85], v[0:1]
	v_fma_f64 v[82:83], v[82:83], v[2:3], -v[0:1]
	s_clause 0x2
	scratch_load_b64 v[85:86], off, off offset:328
	scratch_load_b64 v[0:1], off, off offset:320
	scratch_load_b32 v84, off, off offset:336
	s_waitcnt vmcnt(1)
	v_mov_b32_e32 v86, v0
	s_waitcnt vmcnt(0)
	v_mad_u64_u32 v[0:1], null, s4, v84, 0
	s_delay_alu instid0(VALU_DEP_1) | instskip(SKIP_1) | instid1(VALU_DEP_1)
	v_mad_u64_u32 v[2:3], null, s5, v84, v[1:2]
	s_mulk_i32 s5, 0xef00
	v_mov_b32_e32 v1, v2
	v_lshlrev_b64 v[2:3], 4, v[85:86]
	s_delay_alu instid0(VALU_DEP_2) | instskip(NEXT) | instid1(VALU_DEP_2)
	v_lshlrev_b64 v[0:1], 4, v[0:1]
	v_add_co_u32 v2, vcc_lo, s0, v2
	s_delay_alu instid0(VALU_DEP_3) | instskip(SKIP_1) | instid1(VALU_DEP_2)
	v_add_co_ci_u32_e32 v3, vcc_lo, s1, v3, vcc_lo
	s_mov_b32 s0, 0x9999999a
	v_add_co_u32 v84, vcc_lo, v2, v0
	s_mov_b32 s1, 0x3f699999
	s_delay_alu instid0(VALU_DEP_2) | instskip(SKIP_3) | instid1(VALU_DEP_4)
	v_add_co_ci_u32_e32 v85, vcc_lo, v3, v1, vcc_lo
	v_mul_f64 v[0:1], v[4:5], s[0:1]
	v_mul_f64 v[2:3], v[6:7], s[0:1]
	v_add_co_u32 v4, vcc_lo, v84, s2
	v_add_co_ci_u32_e32 v5, vcc_lo, s3, v85, vcc_lo
	v_mul_f64 v[6:7], v[34:35], s[0:1]
	v_mul_f64 v[34:35], v[70:71], s[0:1]
	global_store_b128 v[84:85], v[0:3], off
	v_mul_f64 v[0:1], v[8:9], s[0:1]
	v_mul_f64 v[2:3], v[10:11], s[0:1]
	global_store_b128 v[4:5], v[0:3], off
	v_mul_f64 v[0:1], v[12:13], s[0:1]
	v_mul_f64 v[2:3], v[14:15], s[0:1]
	v_add_co_u32 v4, vcc_lo, v4, s2
	v_add_co_ci_u32_e32 v5, vcc_lo, s3, v5, vcc_lo
	v_mul_f64 v[12:13], v[48:49], s[0:1]
	v_mul_f64 v[14:15], v[50:51], s[0:1]
	global_store_b128 v[4:5], v[0:3], off
	v_mul_f64 v[0:1], v[16:17], s[0:1]
	v_mul_f64 v[2:3], v[18:19], s[0:1]
	v_add_co_u32 v4, vcc_lo, v4, s2
	v_add_co_ci_u32_e32 v5, vcc_lo, s3, v5, vcc_lo
	;; [unrolled: 7-line block ×3, first 2 shown]
	v_mul_f64 v[20:21], v[56:57], s[0:1]
	s_delay_alu instid0(VALU_DEP_3) | instskip(NEXT) | instid1(VALU_DEP_3)
	v_add_co_u32 v8, vcc_lo, v4, s2
	v_add_co_ci_u32_e32 v9, vcc_lo, s3, v5, vcc_lo
	v_mul_f64 v[22:23], v[58:59], s[0:1]
	global_store_b128 v[4:5], v[0:3], off
	v_mul_f64 v[0:1], v[24:25], s[0:1]
	v_mul_f64 v[2:3], v[26:27], s[0:1]
	;; [unrolled: 1-line block ×6, first 2 shown]
	global_store_b128 v[8:9], v[0:3], off
	v_mul_f64 v[0:1], v[28:29], s[0:1]
	v_mul_f64 v[2:3], v[30:31], s[0:1]
	v_add_co_u32 v8, vcc_lo, v8, s2
	v_add_co_ci_u32_e32 v9, vcc_lo, s3, v9, vcc_lo
	v_mul_f64 v[28:29], v[64:65], s[0:1]
	s_delay_alu instid0(VALU_DEP_3) | instskip(NEXT) | instid1(VALU_DEP_3)
	v_add_co_u32 v10, vcc_lo, v8, s2
	v_add_co_ci_u32_e32 v11, vcc_lo, s3, v9, vcc_lo
	v_mul_f64 v[30:31], v[66:67], s[0:1]
	s_delay_alu instid0(VALU_DEP_3) | instskip(NEXT) | instid1(VALU_DEP_3)
	v_add_co_u32 v84, vcc_lo, v10, s2
	v_add_co_ci_u32_e32 v85, vcc_lo, s3, v11, vcc_lo
	s_delay_alu instid0(VALU_DEP_2) | instskip(NEXT) | instid1(VALU_DEP_2)
	v_add_co_u32 v86, vcc_lo, v84, s2
	v_add_co_ci_u32_e32 v87, vcc_lo, s3, v85, vcc_lo
	s_delay_alu instid0(VALU_DEP_1)
	v_mad_u64_u32 v[88:89], null, 0xffffef00, s4, v[86:87]
	s_sub_i32 s4, s5, s4
	s_delay_alu instid0(VALU_DEP_1) | instid1(SALU_CYCLE_1)
	v_add_nc_u32_e32 v89, s4, v89
	s_delay_alu instid0(VALU_DEP_2) | instskip(NEXT) | instid1(VALU_DEP_2)
	v_add_co_u32 v90, vcc_lo, v88, s2
	v_add_co_ci_u32_e32 v91, vcc_lo, s3, v89, vcc_lo
	global_store_b128 v[8:9], v[0:3], off
	v_mul_f64 v[0:1], v[36:37], s[0:1]
	v_mul_f64 v[2:3], v[38:39], s[0:1]
	global_store_b128 v[10:11], v[4:7], off
	v_mul_f64 v[4:5], v[40:41], s[0:1]
	v_mul_f64 v[6:7], v[42:43], s[0:1]
	;; [unrolled: 1-line block ×4, first 2 shown]
	v_add_co_u32 v92, vcc_lo, v90, s2
	v_add_co_ci_u32_e32 v93, vcc_lo, s3, v91, vcc_lo
	v_mul_f64 v[36:37], v[72:73], s[0:1]
	s_delay_alu instid0(VALU_DEP_3)
	v_add_co_u32 v48, vcc_lo, v92, s2
	v_mul_f64 v[38:39], v[74:75], s[0:1]
	v_mul_f64 v[40:41], v[76:77], s[0:1]
	;; [unrolled: 1-line block ×3, first 2 shown]
	v_add_co_ci_u32_e32 v49, vcc_lo, s3, v93, vcc_lo
	v_mul_f64 v[44:45], v[80:81], s[0:1]
	v_mul_f64 v[46:47], v[82:83], s[0:1]
	global_store_b128 v[84:85], v[0:3], off
	v_add_co_u32 v0, vcc_lo, v48, s2
	v_add_co_ci_u32_e32 v1, vcc_lo, s3, v49, vcc_lo
	global_store_b128 v[86:87], v[4:7], off
	v_add_co_u32 v2, vcc_lo, v0, s2
	v_add_co_ci_u32_e32 v3, vcc_lo, s3, v1, vcc_lo
	s_delay_alu instid0(VALU_DEP_2) | instskip(NEXT) | instid1(VALU_DEP_2)
	v_add_co_u32 v50, vcc_lo, v2, s2
	v_add_co_ci_u32_e32 v51, vcc_lo, s3, v3, vcc_lo
	s_delay_alu instid0(VALU_DEP_2) | instskip(NEXT) | instid1(VALU_DEP_2)
	;; [unrolled: 3-line block ×4, first 2 shown]
	v_add_co_u32 v52, vcc_lo, v6, s2
	v_add_co_ci_u32_e32 v53, vcc_lo, s3, v7, vcc_lo
	global_store_b128 v[88:89], v[8:11], off
	global_store_b128 v[90:91], v[12:15], off
	global_store_b128 v[92:93], v[16:19], off
	global_store_b128 v[48:49], v[20:23], off
	global_store_b128 v[0:1], v[24:27], off
	global_store_b128 v[2:3], v[28:31], off
	global_store_b128 v[50:51], v[32:35], off
	global_store_b128 v[4:5], v[36:39], off
	global_store_b128 v[6:7], v[40:43], off
	global_store_b128 v[52:53], v[44:47], off
.LBB0_2:
	s_nop 0
	s_sendmsg sendmsg(MSG_DEALLOC_VGPRS)
	s_endpgm
	.section	.rodata,"a",@progbits
	.p2align	6, 0x0
	.amdhsa_kernel bluestein_single_back_len320_dim1_dp_op_CI_CI
		.amdhsa_group_segment_fixed_size 20480
		.amdhsa_private_segment_fixed_size 368
		.amdhsa_kernarg_size 104
		.amdhsa_user_sgpr_count 15
		.amdhsa_user_sgpr_dispatch_ptr 0
		.amdhsa_user_sgpr_queue_ptr 0
		.amdhsa_user_sgpr_kernarg_segment_ptr 1
		.amdhsa_user_sgpr_dispatch_id 0
		.amdhsa_user_sgpr_private_segment_size 0
		.amdhsa_wavefront_size32 1
		.amdhsa_uses_dynamic_stack 0
		.amdhsa_enable_private_segment 1
		.amdhsa_system_sgpr_workgroup_id_x 1
		.amdhsa_system_sgpr_workgroup_id_y 0
		.amdhsa_system_sgpr_workgroup_id_z 0
		.amdhsa_system_sgpr_workgroup_info 0
		.amdhsa_system_vgpr_workitem_id 0
		.amdhsa_next_free_vgpr 256
		.amdhsa_next_free_sgpr 26
		.amdhsa_reserve_vcc 1
		.amdhsa_float_round_mode_32 0
		.amdhsa_float_round_mode_16_64 0
		.amdhsa_float_denorm_mode_32 3
		.amdhsa_float_denorm_mode_16_64 3
		.amdhsa_dx10_clamp 1
		.amdhsa_ieee_mode 1
		.amdhsa_fp16_overflow 0
		.amdhsa_workgroup_processor_mode 1
		.amdhsa_memory_ordered 1
		.amdhsa_forward_progress 0
		.amdhsa_shared_vgpr_count 0
		.amdhsa_exception_fp_ieee_invalid_op 0
		.amdhsa_exception_fp_denorm_src 0
		.amdhsa_exception_fp_ieee_div_zero 0
		.amdhsa_exception_fp_ieee_overflow 0
		.amdhsa_exception_fp_ieee_underflow 0
		.amdhsa_exception_fp_ieee_inexact 0
		.amdhsa_exception_int_div_zero 0
	.end_amdhsa_kernel
	.text
.Lfunc_end0:
	.size	bluestein_single_back_len320_dim1_dp_op_CI_CI, .Lfunc_end0-bluestein_single_back_len320_dim1_dp_op_CI_CI
                                        ; -- End function
	.section	.AMDGPU.csdata,"",@progbits
; Kernel info:
; codeLenInByte = 21360
; NumSgprs: 28
; NumVgprs: 256
; ScratchSize: 368
; MemoryBound: 0
; FloatMode: 240
; IeeeMode: 1
; LDSByteSize: 20480 bytes/workgroup (compile time only)
; SGPRBlocks: 3
; VGPRBlocks: 31
; NumSGPRsForWavesPerEU: 28
; NumVGPRsForWavesPerEU: 256
; Occupancy: 3
; WaveLimiterHint : 1
; COMPUTE_PGM_RSRC2:SCRATCH_EN: 1
; COMPUTE_PGM_RSRC2:USER_SGPR: 15
; COMPUTE_PGM_RSRC2:TRAP_HANDLER: 0
; COMPUTE_PGM_RSRC2:TGID_X_EN: 1
; COMPUTE_PGM_RSRC2:TGID_Y_EN: 0
; COMPUTE_PGM_RSRC2:TGID_Z_EN: 0
; COMPUTE_PGM_RSRC2:TIDIG_COMP_CNT: 0
	.text
	.p2alignl 7, 3214868480
	.fill 96, 4, 3214868480
	.type	__hip_cuid_37e5f9637f1f29a6,@object ; @__hip_cuid_37e5f9637f1f29a6
	.section	.bss,"aw",@nobits
	.globl	__hip_cuid_37e5f9637f1f29a6
__hip_cuid_37e5f9637f1f29a6:
	.byte	0                               ; 0x0
	.size	__hip_cuid_37e5f9637f1f29a6, 1

	.ident	"AMD clang version 19.0.0git (https://github.com/RadeonOpenCompute/llvm-project roc-6.4.0 25133 c7fe45cf4b819c5991fe208aaa96edf142730f1d)"
	.section	".note.GNU-stack","",@progbits
	.addrsig
	.addrsig_sym __hip_cuid_37e5f9637f1f29a6
	.amdgpu_metadata
---
amdhsa.kernels:
  - .args:
      - .actual_access:  read_only
        .address_space:  global
        .offset:         0
        .size:           8
        .value_kind:     global_buffer
      - .actual_access:  read_only
        .address_space:  global
        .offset:         8
        .size:           8
        .value_kind:     global_buffer
      - .actual_access:  read_only
        .address_space:  global
        .offset:         16
        .size:           8
        .value_kind:     global_buffer
      - .actual_access:  read_only
        .address_space:  global
        .offset:         24
        .size:           8
        .value_kind:     global_buffer
      - .actual_access:  read_only
        .address_space:  global
        .offset:         32
        .size:           8
        .value_kind:     global_buffer
      - .offset:         40
        .size:           8
        .value_kind:     by_value
      - .address_space:  global
        .offset:         48
        .size:           8
        .value_kind:     global_buffer
      - .address_space:  global
        .offset:         56
        .size:           8
        .value_kind:     global_buffer
      - .address_space:  global
        .offset:         64
        .size:           8
        .value_kind:     global_buffer
      - .address_space:  global
        .offset:         72
        .size:           8
        .value_kind:     global_buffer
      - .offset:         80
        .size:           4
        .value_kind:     by_value
      - .address_space:  global
        .offset:         88
        .size:           8
        .value_kind:     global_buffer
      - .address_space:  global
        .offset:         96
        .size:           8
        .value_kind:     global_buffer
    .group_segment_fixed_size: 20480
    .kernarg_segment_align: 8
    .kernarg_segment_size: 104
    .language:       OpenCL C
    .language_version:
      - 2
      - 0
    .max_flat_workgroup_size: 64
    .name:           bluestein_single_back_len320_dim1_dp_op_CI_CI
    .private_segment_fixed_size: 368
    .sgpr_count:     28
    .sgpr_spill_count: 0
    .symbol:         bluestein_single_back_len320_dim1_dp_op_CI_CI.kd
    .uniform_work_group_size: 1
    .uses_dynamic_stack: false
    .vgpr_count:     256
    .vgpr_spill_count: 91
    .wavefront_size: 32
    .workgroup_processor_mode: 1
amdhsa.target:   amdgcn-amd-amdhsa--gfx1100
amdhsa.version:
  - 1
  - 2
...

	.end_amdgpu_metadata
